;; amdgpu-corpus repo=zjin-lcf/HeCBench kind=compiled arch=gfx906 opt=O3
	.amdgcn_target "amdgcn-amd-amdhsa--gfx906"
	.amdhsa_code_object_version 6
	.section	.text._Z14scatter_kernelIiL13ReductionType1EEvPKT_10TensorInfoIllEPS1_iiii,"axG",@progbits,_Z14scatter_kernelIiL13ReductionType1EEvPKT_10TensorInfoIllEPS1_iiii,comdat
	.protected	_Z14scatter_kernelIiL13ReductionType1EEvPKT_10TensorInfoIllEPS1_iiii ; -- Begin function _Z14scatter_kernelIiL13ReductionType1EEvPKT_10TensorInfoIllEPS1_iiii
	.globl	_Z14scatter_kernelIiL13ReductionType1EEvPKT_10TensorInfoIllEPS1_iiii
	.p2align	8
	.type	_Z14scatter_kernelIiL13ReductionType1EEvPKT_10TensorInfoIllEPS1_iiii,@function
_Z14scatter_kernelIiL13ReductionType1EEvPKT_10TensorInfoIllEPS1_iiii: ; @_Z14scatter_kernelIiL13ReductionType1EEvPKT_10TensorInfoIllEPS1_iiii
; %bb.0:
	s_load_dword s0, s[4:5], 0x1cc
	s_load_dwordx4 s[8:11], s[4:5], 0x1b0
	s_waitcnt lgkmcnt(0)
	s_and_b32 s0, s0, 0xffff
	s_mul_i32 s6, s6, s0
	v_add_u32_e32 v0, s6, v0
	v_cmp_gt_i32_e32 vcc, s11, v0
	s_and_saveexec_b64 s[0:1], vcc
	s_cbranch_execz .LBB0_12
; %bb.1:
	s_add_u32 s2, s4, 8
	s_addc_u32 s3, s5, 0
	s_abs_i32 s11, s9
	s_mul_i32 s20, s9, s8
	v_cvt_f32_u32_e32 v1, s11
	s_abs_i32 s8, s20
	v_cvt_f32_u32_e32 v2, s8
	s_sub_i32 s0, 0, s11
	v_rcp_iflag_f32_e32 v1, v1
	v_sub_u32_e32 v5, 0, v0
	v_rcp_iflag_f32_e32 v2, v2
	v_max_i32_e32 v12, v0, v5
	v_mul_f32_e32 v1, 0x4f7ffffe, v1
	v_cvt_u32_f32_e32 v1, v1
	v_mul_f32_e32 v2, 0x4f7ffffe, v2
	v_cvt_u32_f32_e32 v4, v2
	s_mov_b32 s1, 0
	v_mul_lo_u32 v2, s0, v1
	s_sub_i32 s0, 0, s8
	v_mul_lo_u32 v3, s0, v4
	s_load_dword s0, s[4:5], 0x1a0
	v_mul_hi_u32 v2, v1, v2
	v_mul_hi_u32 v5, v4, v3
	v_add_u32_e32 v1, v1, v2
	v_mad_u64_u32 v[2:3], s[6:7], v12, v1, 0
	v_add_u32_e32 v1, v4, v5
	v_mad_u64_u32 v[1:2], s[6:7], v12, v1, 0
	v_mov_b32_e32 v4, 0
	s_waitcnt lgkmcnt(0)
	s_cmp_lt_i32 s0, 2
	v_ashrrev_i32_e32 v1, 31, v0
	v_mov_b32_e32 v5, 0
	s_cbranch_scc1 .LBB0_9
; %bb.2:
	s_add_i32 s21, s0, 1
	s_add_i32 s0, s0, -1
	s_lshl_b64 s[0:1], s[0:1], 3
	s_add_u32 s0, s2, s0
	s_addc_u32 s1, s3, s1
	s_add_u32 s6, s0, 8
	v_mov_b32_e32 v4, 0
	v_mov_b32_e32 v9, v1
	s_addc_u32 s7, s1, 0
	v_mov_b32_e32 v5, 0
	v_mov_b32_e32 v6, 0
	v_mov_b32_e32 v8, v0
.LBB0_3:                                ; =>This Inner Loop Header: Depth=1
	s_load_dwordx2 s[12:13], s[6:7], 0x0
                                        ; implicit-def: $vgpr10_vgpr11
	s_waitcnt lgkmcnt(0)
	v_or_b32_e32 v7, s13, v9
	v_cmp_ne_u64_e32 vcc, 0, v[6:7]
	s_and_saveexec_b64 s[0:1], vcc
	s_xor_b64 s[14:15], exec, s[0:1]
	s_cbranch_execz .LBB0_5
; %bb.4:                                ;   in Loop: Header=BB0_3 Depth=1
	s_ashr_i32 s16, s13, 31
	s_add_u32 s0, s12, s16
	s_mov_b32 s17, s16
	s_addc_u32 s1, s13, s16
	s_xor_b64 s[18:19], s[0:1], s[16:17]
	v_cvt_f32_u32_e32 v7, s18
	v_cvt_f32_u32_e32 v10, s19
	s_sub_u32 s17, 0, s18
	s_subb_u32 s22, 0, s19
	v_mac_f32_e32 v7, 0x4f800000, v10
	v_rcp_f32_e32 v7, v7
	v_mul_f32_e32 v7, 0x5f7ffffc, v7
	v_mul_f32_e32 v10, 0x2f800000, v7
	v_trunc_f32_e32 v10, v10
	v_mac_f32_e32 v7, 0xcf800000, v10
	v_cvt_u32_f32_e32 v10, v10
	v_cvt_u32_f32_e32 v7, v7
	v_readfirstlane_b32 s23, v10
	v_readfirstlane_b32 s0, v7
	s_mul_i32 s1, s17, s23
	s_mul_hi_u32 s25, s17, s0
	s_mul_i32 s24, s22, s0
	s_add_i32 s1, s25, s1
	s_add_i32 s1, s1, s24
	s_mul_i32 s26, s17, s0
	s_mul_i32 s25, s0, s1
	s_mul_hi_u32 s27, s0, s26
	s_mul_hi_u32 s24, s0, s1
	s_add_u32 s25, s27, s25
	s_addc_u32 s24, 0, s24
	s_mul_hi_u32 s28, s23, s26
	s_mul_i32 s26, s23, s26
	s_add_u32 s25, s25, s26
	s_mul_hi_u32 s27, s23, s1
	s_addc_u32 s24, s24, s28
	s_addc_u32 s25, s27, 0
	s_mul_i32 s1, s23, s1
	s_add_u32 s1, s24, s1
	s_addc_u32 s24, 0, s25
	s_add_u32 s25, s0, s1
	s_cselect_b64 s[0:1], -1, 0
	s_cmp_lg_u64 s[0:1], 0
	s_addc_u32 s23, s23, s24
	s_mul_i32 s0, s17, s23
	s_mul_hi_u32 s1, s17, s25
	s_add_i32 s0, s1, s0
	s_mul_i32 s22, s22, s25
	s_add_i32 s0, s0, s22
	s_mul_i32 s17, s17, s25
	s_mul_hi_u32 s22, s23, s17
	s_mul_i32 s24, s23, s17
	s_mul_i32 s27, s25, s0
	s_mul_hi_u32 s17, s25, s17
	s_mul_hi_u32 s26, s25, s0
	s_add_u32 s17, s17, s27
	s_addc_u32 s26, 0, s26
	s_add_u32 s17, s17, s24
	s_mul_hi_u32 s1, s23, s0
	s_addc_u32 s17, s26, s22
	s_addc_u32 s1, s1, 0
	s_mul_i32 s0, s23, s0
	s_add_u32 s0, s17, s0
	s_addc_u32 s17, 0, s1
	s_add_u32 s22, s25, s0
	s_cselect_b64 s[0:1], -1, 0
	v_ashrrev_i32_e32 v7, 31, v9
	s_cmp_lg_u64 s[0:1], 0
	v_add_co_u32_e32 v10, vcc, v8, v7
	s_addc_u32 s17, s23, s17
	v_xor_b32_e32 v15, v10, v7
	v_mad_u64_u32 v[10:11], s[0:1], v15, s17, 0
	v_mul_hi_u32 v14, v15, s22
	v_addc_co_u32_e32 v13, vcc, v9, v7, vcc
	v_xor_b32_e32 v16, v13, v7
	v_add_co_u32_e32 v17, vcc, v14, v10
	v_addc_co_u32_e32 v18, vcc, 0, v11, vcc
	v_mad_u64_u32 v[10:11], s[0:1], v16, s22, 0
	v_mad_u64_u32 v[13:14], s[0:1], v16, s17, 0
	v_add_co_u32_e32 v10, vcc, v17, v10
	v_addc_co_u32_e32 v10, vcc, v18, v11, vcc
	v_addc_co_u32_e32 v11, vcc, 0, v14, vcc
	v_add_co_u32_e32 v13, vcc, v10, v13
	v_addc_co_u32_e32 v14, vcc, 0, v11, vcc
	v_mul_lo_u32 v17, s19, v13
	v_mul_lo_u32 v18, s18, v14
	v_mad_u64_u32 v[10:11], s[0:1], s18, v13, 0
	v_xor_b32_e32 v7, s16, v7
	v_add3_u32 v11, v11, v18, v17
	v_sub_u32_e32 v17, v16, v11
	v_mov_b32_e32 v18, s19
	v_sub_co_u32_e32 v10, vcc, v15, v10
	v_subb_co_u32_e64 v15, s[0:1], v17, v18, vcc
	v_subrev_co_u32_e64 v17, s[0:1], s18, v10
	v_subbrev_co_u32_e64 v15, s[0:1], 0, v15, s[0:1]
	v_cmp_le_u32_e64 s[0:1], s19, v15
	v_cndmask_b32_e64 v18, 0, -1, s[0:1]
	v_cmp_le_u32_e64 s[0:1], s18, v17
	v_cndmask_b32_e64 v17, 0, -1, s[0:1]
	v_cmp_eq_u32_e64 s[0:1], s19, v15
	v_cndmask_b32_e64 v15, v18, v17, s[0:1]
	v_add_co_u32_e64 v17, s[0:1], 2, v13
	v_subb_co_u32_e32 v11, vcc, v16, v11, vcc
	v_addc_co_u32_e64 v18, s[0:1], 0, v14, s[0:1]
	v_cmp_le_u32_e32 vcc, s19, v11
	v_add_co_u32_e64 v19, s[0:1], 1, v13
	v_cndmask_b32_e64 v16, 0, -1, vcc
	v_cmp_le_u32_e32 vcc, s18, v10
	v_addc_co_u32_e64 v20, s[0:1], 0, v14, s[0:1]
	v_cndmask_b32_e64 v10, 0, -1, vcc
	v_cmp_eq_u32_e32 vcc, s19, v11
	v_cmp_ne_u32_e64 s[0:1], 0, v15
	v_cndmask_b32_e32 v10, v16, v10, vcc
	v_cndmask_b32_e64 v15, v20, v18, s[0:1]
	v_cmp_ne_u32_e32 vcc, 0, v10
	v_cndmask_b32_e64 v11, v19, v17, s[0:1]
	v_cndmask_b32_e32 v10, v14, v15, vcc
	v_cndmask_b32_e32 v11, v13, v11, vcc
	v_xor_b32_e32 v13, v10, v7
	v_xor_b32_e32 v10, v11, v7
	v_sub_co_u32_e32 v10, vcc, v10, v7
	v_subb_co_u32_e32 v11, vcc, v13, v7, vcc
.LBB0_5:                                ;   in Loop: Header=BB0_3 Depth=1
	s_andn2_saveexec_b64 s[0:1], s[14:15]
	s_cbranch_execz .LBB0_7
; %bb.6:                                ;   in Loop: Header=BB0_3 Depth=1
	v_cvt_f32_u32_e32 v7, s12
	s_sub_i32 s14, 0, s12
	v_rcp_iflag_f32_e32 v7, v7
	v_mul_f32_e32 v7, 0x4f7ffffe, v7
	v_cvt_u32_f32_e32 v7, v7
	v_mul_lo_u32 v10, s14, v7
	v_mul_hi_u32 v10, v7, v10
	v_add_u32_e32 v7, v7, v10
	v_mul_hi_u32 v7, v8, v7
	v_mul_lo_u32 v10, v7, s12
	v_add_u32_e32 v11, 1, v7
	v_sub_u32_e32 v10, v8, v10
	v_subrev_u32_e32 v13, s12, v10
	v_cmp_le_u32_e32 vcc, s12, v10
	v_cndmask_b32_e32 v10, v10, v13, vcc
	v_cndmask_b32_e32 v7, v7, v11, vcc
	v_add_u32_e32 v11, 1, v7
	v_cmp_le_u32_e32 vcc, s12, v10
	v_cndmask_b32_e32 v10, v7, v11, vcc
	v_mov_b32_e32 v11, v6
.LBB0_7:                                ;   in Loop: Header=BB0_3 Depth=1
	s_or_b64 exec, exec, s[0:1]
	v_mul_lo_u32 v7, v11, s12
	v_mul_lo_u32 v15, v10, s13
	v_mad_u64_u32 v[13:14], s[0:1], v10, s12, 0
	s_load_dwordx2 s[0:1], s[6:7], 0xc8
	s_add_i32 s21, s21, -1
	v_add3_u32 v7, v14, v15, v7
	v_sub_co_u32_e32 v8, vcc, v8, v13
	v_subb_co_u32_e32 v7, vcc, v9, v7, vcc
	s_waitcnt lgkmcnt(0)
	v_mul_lo_u32 v7, s0, v7
	v_mul_lo_u32 v9, s1, v8
	v_mad_u64_u32 v[4:5], s[0:1], s0, v8, v[4:5]
	s_add_u32 s6, s6, -8
	s_addc_u32 s7, s7, -1
	s_cmp_gt_u32 s21, 2
	v_add3_u32 v5, v9, v5, v7
	s_cbranch_scc0 .LBB0_10
; %bb.8:                                ;   in Loop: Header=BB0_3 Depth=1
	v_mov_b32_e32 v8, v10
	v_mov_b32_e32 v9, v11
	s_branch .LBB0_3
.LBB0_9:
	v_mov_b32_e32 v11, v1
	v_mov_b32_e32 v10, v0
.LBB0_10:
	s_load_dwordx2 s[6:7], s[4:5], 0x1a8
	s_load_dword s1, s[2:3], 0xd0
	s_load_dwordx2 s[12:13], s[2:3], 0x0
	v_mul_lo_u32 v3, v3, s11
	v_mul_lo_u32 v9, v2, s8
	s_ashr_i32 s0, s20, 31
	s_waitcnt lgkmcnt(0)
	v_mad_u64_u32 v[4:5], s[2:3], s1, v10, v[4:5]
	v_mov_b32_e32 v5, 0
	v_mov_b32_e32 v7, s13
	;; [unrolled: 1-line block ×3, first 2 shown]
	v_ashrrev_i64 v[4:5], 29, v[5:6]
	s_load_dwordx2 s[2:3], s[4:5], 0x0
	v_add_co_u32_e32 v4, vcc, s12, v4
	v_addc_co_u32_e32 v5, vcc, v7, v5, vcc
	global_load_dwordx2 v[4:5], v[4:5], off
	v_lshlrev_b64 v[6:7], 2, v[0:1]
	v_sub_u32_e32 v0, v12, v3
	v_sub_u32_e32 v3, v12, v9
	v_add_u32_e32 v10, 1, v2
	v_cmp_le_u32_e32 vcc, s8, v3
	v_cndmask_b32_e32 v2, v2, v10, vcc
	v_subrev_u32_e32 v10, s8, v3
	s_waitcnt lgkmcnt(0)
	v_mov_b32_e32 v12, s3
	v_cndmask_b32_e32 v3, v3, v10, vcc
	v_add_co_u32_e32 v6, vcc, s2, v6
	v_xor_b32_e32 v8, s0, v1
	v_subrev_u32_e32 v9, s11, v0
	v_cmp_le_u32_e64 s[0:1], s11, v0
	v_addc_co_u32_e32 v7, vcc, v12, v7, vcc
	v_cndmask_b32_e64 v0, v0, v9, s[0:1]
	v_add_u32_e32 v9, 1, v2
	v_cmp_le_u32_e32 vcc, s8, v3
	v_subrev_u32_e32 v10, s11, v0
	v_cndmask_b32_e32 v2, v2, v9, vcc
	v_cmp_le_u32_e32 vcc, s11, v0
	v_cndmask_b32_e32 v0, v0, v10, vcc
	v_xor_b32_e32 v2, v2, v8
	s_mul_i32 s4, s10, s9
	v_xor_b32_e32 v3, v0, v1
	v_sub_u32_e32 v0, v2, v8
	v_mul_lo_u32 v0, s4, v0
	s_ashr_i32 s5, s9, 31
	v_sub_u32_e32 v1, v3, v1
	v_ashrrev_i32_e32 v2, 31, v1
	v_lshlrev_b64 v[2:3], 2, v[1:2]
	v_ashrrev_i32_e32 v1, 31, v0
	v_lshlrev_b64 v[0:1], 2, v[0:1]
	v_mov_b32_e32 v11, s7
	v_add_co_u32_e32 v10, vcc, s6, v0
	v_addc_co_u32_e32 v11, vcc, v11, v1, vcc
	s_waitcnt vmcnt(0)
	v_mul_lo_u32 v8, v4, s5
	v_mul_lo_u32 v9, v5, s9
	v_mad_u64_u32 v[4:5], s[0:1], v4, s9, 0
	s_mov_b64 s[0:1], 0
	v_add3_u32 v5, v5, v8, v9
	v_lshlrev_b64 v[0:1], 2, v[4:5]
	v_add_co_u32_e32 v0, vcc, v10, v0
	v_addc_co_u32_e32 v1, vcc, v11, v1, vcc
	v_add_co_u32_e32 v0, vcc, v0, v2
	v_addc_co_u32_e32 v1, vcc, v1, v3, vcc
	global_load_dword v4, v[6:7], off
	global_load_dword v3, v[0:1], off glc
.LBB0_11:                               ; =>This Inner Loop Header: Depth=1
	s_waitcnt vmcnt(0)
	v_mul_lo_u32 v2, v3, v4
	global_atomic_cmpswap v2, v[0:1], v[2:3], off glc
	s_waitcnt vmcnt(0)
	v_cmp_eq_u32_e32 vcc, v3, v2
	s_or_b64 s[0:1], vcc, s[0:1]
	v_mov_b32_e32 v3, v2
	s_andn2_b64 exec, exec, s[0:1]
	s_cbranch_execnz .LBB0_11
.LBB0_12:
	s_endpgm
	.section	.rodata,"a",@progbits
	.p2align	6, 0x0
	.amdhsa_kernel _Z14scatter_kernelIiL13ReductionType1EEvPKT_10TensorInfoIllEPS1_iiii
		.amdhsa_group_segment_fixed_size 0
		.amdhsa_private_segment_fixed_size 0
		.amdhsa_kernarg_size 704
		.amdhsa_user_sgpr_count 6
		.amdhsa_user_sgpr_private_segment_buffer 1
		.amdhsa_user_sgpr_dispatch_ptr 0
		.amdhsa_user_sgpr_queue_ptr 0
		.amdhsa_user_sgpr_kernarg_segment_ptr 1
		.amdhsa_user_sgpr_dispatch_id 0
		.amdhsa_user_sgpr_flat_scratch_init 0
		.amdhsa_user_sgpr_private_segment_size 0
		.amdhsa_uses_dynamic_stack 0
		.amdhsa_system_sgpr_private_segment_wavefront_offset 0
		.amdhsa_system_sgpr_workgroup_id_x 1
		.amdhsa_system_sgpr_workgroup_id_y 0
		.amdhsa_system_sgpr_workgroup_id_z 0
		.amdhsa_system_sgpr_workgroup_info 0
		.amdhsa_system_vgpr_workitem_id 0
		.amdhsa_next_free_vgpr 21
		.amdhsa_next_free_sgpr 29
		.amdhsa_reserve_vcc 1
		.amdhsa_reserve_flat_scratch 0
		.amdhsa_float_round_mode_32 0
		.amdhsa_float_round_mode_16_64 0
		.amdhsa_float_denorm_mode_32 3
		.amdhsa_float_denorm_mode_16_64 3
		.amdhsa_dx10_clamp 1
		.amdhsa_ieee_mode 1
		.amdhsa_fp16_overflow 0
		.amdhsa_exception_fp_ieee_invalid_op 0
		.amdhsa_exception_fp_denorm_src 0
		.amdhsa_exception_fp_ieee_div_zero 0
		.amdhsa_exception_fp_ieee_overflow 0
		.amdhsa_exception_fp_ieee_underflow 0
		.amdhsa_exception_fp_ieee_inexact 0
		.amdhsa_exception_int_div_zero 0
	.end_amdhsa_kernel
	.section	.text._Z14scatter_kernelIiL13ReductionType1EEvPKT_10TensorInfoIllEPS1_iiii,"axG",@progbits,_Z14scatter_kernelIiL13ReductionType1EEvPKT_10TensorInfoIllEPS1_iiii,comdat
.Lfunc_end0:
	.size	_Z14scatter_kernelIiL13ReductionType1EEvPKT_10TensorInfoIllEPS1_iiii, .Lfunc_end0-_Z14scatter_kernelIiL13ReductionType1EEvPKT_10TensorInfoIllEPS1_iiii
                                        ; -- End function
	.set _Z14scatter_kernelIiL13ReductionType1EEvPKT_10TensorInfoIllEPS1_iiii.num_vgpr, 21
	.set _Z14scatter_kernelIiL13ReductionType1EEvPKT_10TensorInfoIllEPS1_iiii.num_agpr, 0
	.set _Z14scatter_kernelIiL13ReductionType1EEvPKT_10TensorInfoIllEPS1_iiii.numbered_sgpr, 29
	.set _Z14scatter_kernelIiL13ReductionType1EEvPKT_10TensorInfoIllEPS1_iiii.num_named_barrier, 0
	.set _Z14scatter_kernelIiL13ReductionType1EEvPKT_10TensorInfoIllEPS1_iiii.private_seg_size, 0
	.set _Z14scatter_kernelIiL13ReductionType1EEvPKT_10TensorInfoIllEPS1_iiii.uses_vcc, 1
	.set _Z14scatter_kernelIiL13ReductionType1EEvPKT_10TensorInfoIllEPS1_iiii.uses_flat_scratch, 0
	.set _Z14scatter_kernelIiL13ReductionType1EEvPKT_10TensorInfoIllEPS1_iiii.has_dyn_sized_stack, 0
	.set _Z14scatter_kernelIiL13ReductionType1EEvPKT_10TensorInfoIllEPS1_iiii.has_recursion, 0
	.set _Z14scatter_kernelIiL13ReductionType1EEvPKT_10TensorInfoIllEPS1_iiii.has_indirect_call, 0
	.section	.AMDGPU.csdata,"",@progbits
; Kernel info:
; codeLenInByte = 1532
; TotalNumSgprs: 33
; NumVgprs: 21
; ScratchSize: 0
; MemoryBound: 0
; FloatMode: 240
; IeeeMode: 1
; LDSByteSize: 0 bytes/workgroup (compile time only)
; SGPRBlocks: 4
; VGPRBlocks: 5
; NumSGPRsForWavesPerEU: 33
; NumVGPRsForWavesPerEU: 21
; Occupancy: 10
; WaveLimiterHint : 1
; COMPUTE_PGM_RSRC2:SCRATCH_EN: 0
; COMPUTE_PGM_RSRC2:USER_SGPR: 6
; COMPUTE_PGM_RSRC2:TRAP_HANDLER: 0
; COMPUTE_PGM_RSRC2:TGID_X_EN: 1
; COMPUTE_PGM_RSRC2:TGID_Y_EN: 0
; COMPUTE_PGM_RSRC2:TGID_Z_EN: 0
; COMPUTE_PGM_RSRC2:TIDIG_COMP_CNT: 0
	.section	.text._Z14scatter_kernelIiL13ReductionType2EEvPKT_10TensorInfoIllEPS1_iiii,"axG",@progbits,_Z14scatter_kernelIiL13ReductionType2EEvPKT_10TensorInfoIllEPS1_iiii,comdat
	.protected	_Z14scatter_kernelIiL13ReductionType2EEvPKT_10TensorInfoIllEPS1_iiii ; -- Begin function _Z14scatter_kernelIiL13ReductionType2EEvPKT_10TensorInfoIllEPS1_iiii
	.globl	_Z14scatter_kernelIiL13ReductionType2EEvPKT_10TensorInfoIllEPS1_iiii
	.p2align	8
	.type	_Z14scatter_kernelIiL13ReductionType2EEvPKT_10TensorInfoIllEPS1_iiii,@function
_Z14scatter_kernelIiL13ReductionType2EEvPKT_10TensorInfoIllEPS1_iiii: ; @_Z14scatter_kernelIiL13ReductionType2EEvPKT_10TensorInfoIllEPS1_iiii
; %bb.0:
	s_load_dword s0, s[4:5], 0x1cc
	s_load_dwordx4 s[8:11], s[4:5], 0x1b0
	s_waitcnt lgkmcnt(0)
	s_and_b32 s0, s0, 0xffff
	s_mul_i32 s6, s6, s0
	v_add_u32_e32 v0, s6, v0
	v_cmp_gt_i32_e32 vcc, s11, v0
	s_and_saveexec_b64 s[0:1], vcc
	s_cbranch_execz .LBB1_12
; %bb.1:
	s_add_u32 s2, s4, 8
	s_addc_u32 s3, s5, 0
	s_abs_i32 s11, s9
	s_mul_i32 s20, s9, s8
	v_cvt_f32_u32_e32 v1, s11
	s_abs_i32 s8, s20
	v_cvt_f32_u32_e32 v2, s8
	s_sub_i32 s0, 0, s11
	v_rcp_iflag_f32_e32 v1, v1
	v_sub_u32_e32 v5, 0, v0
	v_rcp_iflag_f32_e32 v2, v2
	v_max_i32_e32 v12, v0, v5
	v_mul_f32_e32 v1, 0x4f7ffffe, v1
	v_cvt_u32_f32_e32 v1, v1
	v_mul_f32_e32 v2, 0x4f7ffffe, v2
	v_cvt_u32_f32_e32 v4, v2
	s_mov_b32 s1, 0
	v_mul_lo_u32 v2, s0, v1
	s_sub_i32 s0, 0, s8
	v_mul_lo_u32 v3, s0, v4
	s_load_dword s0, s[4:5], 0x1a0
	v_mul_hi_u32 v2, v1, v2
	v_mul_hi_u32 v5, v4, v3
	v_add_u32_e32 v1, v1, v2
	v_mad_u64_u32 v[2:3], s[6:7], v12, v1, 0
	v_add_u32_e32 v1, v4, v5
	v_mad_u64_u32 v[1:2], s[6:7], v12, v1, 0
	v_mov_b32_e32 v4, 0
	s_waitcnt lgkmcnt(0)
	s_cmp_lt_i32 s0, 2
	v_ashrrev_i32_e32 v1, 31, v0
	v_mov_b32_e32 v5, 0
	s_cbranch_scc1 .LBB1_9
; %bb.2:
	s_add_i32 s21, s0, 1
	s_add_i32 s0, s0, -1
	s_lshl_b64 s[0:1], s[0:1], 3
	s_add_u32 s0, s2, s0
	s_addc_u32 s1, s3, s1
	s_add_u32 s6, s0, 8
	v_mov_b32_e32 v4, 0
	v_mov_b32_e32 v9, v1
	s_addc_u32 s7, s1, 0
	v_mov_b32_e32 v5, 0
	v_mov_b32_e32 v6, 0
	;; [unrolled: 1-line block ×3, first 2 shown]
.LBB1_3:                                ; =>This Inner Loop Header: Depth=1
	s_load_dwordx2 s[12:13], s[6:7], 0x0
                                        ; implicit-def: $vgpr10_vgpr11
	s_waitcnt lgkmcnt(0)
	v_or_b32_e32 v7, s13, v9
	v_cmp_ne_u64_e32 vcc, 0, v[6:7]
	s_and_saveexec_b64 s[0:1], vcc
	s_xor_b64 s[14:15], exec, s[0:1]
	s_cbranch_execz .LBB1_5
; %bb.4:                                ;   in Loop: Header=BB1_3 Depth=1
	s_ashr_i32 s16, s13, 31
	s_add_u32 s0, s12, s16
	s_mov_b32 s17, s16
	s_addc_u32 s1, s13, s16
	s_xor_b64 s[18:19], s[0:1], s[16:17]
	v_cvt_f32_u32_e32 v7, s18
	v_cvt_f32_u32_e32 v10, s19
	s_sub_u32 s17, 0, s18
	s_subb_u32 s22, 0, s19
	v_mac_f32_e32 v7, 0x4f800000, v10
	v_rcp_f32_e32 v7, v7
	v_mul_f32_e32 v7, 0x5f7ffffc, v7
	v_mul_f32_e32 v10, 0x2f800000, v7
	v_trunc_f32_e32 v10, v10
	v_mac_f32_e32 v7, 0xcf800000, v10
	v_cvt_u32_f32_e32 v10, v10
	v_cvt_u32_f32_e32 v7, v7
	v_readfirstlane_b32 s23, v10
	v_readfirstlane_b32 s0, v7
	s_mul_i32 s1, s17, s23
	s_mul_hi_u32 s25, s17, s0
	s_mul_i32 s24, s22, s0
	s_add_i32 s1, s25, s1
	s_add_i32 s1, s1, s24
	s_mul_i32 s26, s17, s0
	s_mul_i32 s25, s0, s1
	s_mul_hi_u32 s27, s0, s26
	s_mul_hi_u32 s24, s0, s1
	s_add_u32 s25, s27, s25
	s_addc_u32 s24, 0, s24
	s_mul_hi_u32 s28, s23, s26
	s_mul_i32 s26, s23, s26
	s_add_u32 s25, s25, s26
	s_mul_hi_u32 s27, s23, s1
	s_addc_u32 s24, s24, s28
	s_addc_u32 s25, s27, 0
	s_mul_i32 s1, s23, s1
	s_add_u32 s1, s24, s1
	s_addc_u32 s24, 0, s25
	s_add_u32 s25, s0, s1
	s_cselect_b64 s[0:1], -1, 0
	s_cmp_lg_u64 s[0:1], 0
	s_addc_u32 s23, s23, s24
	s_mul_i32 s0, s17, s23
	s_mul_hi_u32 s1, s17, s25
	s_add_i32 s0, s1, s0
	s_mul_i32 s22, s22, s25
	s_add_i32 s0, s0, s22
	s_mul_i32 s17, s17, s25
	s_mul_hi_u32 s22, s23, s17
	s_mul_i32 s24, s23, s17
	s_mul_i32 s27, s25, s0
	s_mul_hi_u32 s17, s25, s17
	s_mul_hi_u32 s26, s25, s0
	s_add_u32 s17, s17, s27
	s_addc_u32 s26, 0, s26
	s_add_u32 s17, s17, s24
	s_mul_hi_u32 s1, s23, s0
	s_addc_u32 s17, s26, s22
	s_addc_u32 s1, s1, 0
	s_mul_i32 s0, s23, s0
	s_add_u32 s0, s17, s0
	s_addc_u32 s17, 0, s1
	s_add_u32 s22, s25, s0
	s_cselect_b64 s[0:1], -1, 0
	v_ashrrev_i32_e32 v7, 31, v9
	s_cmp_lg_u64 s[0:1], 0
	v_add_co_u32_e32 v10, vcc, v8, v7
	s_addc_u32 s17, s23, s17
	v_xor_b32_e32 v15, v10, v7
	v_mad_u64_u32 v[10:11], s[0:1], v15, s17, 0
	v_mul_hi_u32 v14, v15, s22
	v_addc_co_u32_e32 v13, vcc, v9, v7, vcc
	v_xor_b32_e32 v16, v13, v7
	v_add_co_u32_e32 v17, vcc, v14, v10
	v_addc_co_u32_e32 v18, vcc, 0, v11, vcc
	v_mad_u64_u32 v[10:11], s[0:1], v16, s22, 0
	v_mad_u64_u32 v[13:14], s[0:1], v16, s17, 0
	v_add_co_u32_e32 v10, vcc, v17, v10
	v_addc_co_u32_e32 v10, vcc, v18, v11, vcc
	v_addc_co_u32_e32 v11, vcc, 0, v14, vcc
	v_add_co_u32_e32 v13, vcc, v10, v13
	v_addc_co_u32_e32 v14, vcc, 0, v11, vcc
	v_mul_lo_u32 v17, s19, v13
	v_mul_lo_u32 v18, s18, v14
	v_mad_u64_u32 v[10:11], s[0:1], s18, v13, 0
	v_xor_b32_e32 v7, s16, v7
	v_add3_u32 v11, v11, v18, v17
	v_sub_u32_e32 v17, v16, v11
	v_mov_b32_e32 v18, s19
	v_sub_co_u32_e32 v10, vcc, v15, v10
	v_subb_co_u32_e64 v15, s[0:1], v17, v18, vcc
	v_subrev_co_u32_e64 v17, s[0:1], s18, v10
	v_subbrev_co_u32_e64 v15, s[0:1], 0, v15, s[0:1]
	v_cmp_le_u32_e64 s[0:1], s19, v15
	v_cndmask_b32_e64 v18, 0, -1, s[0:1]
	v_cmp_le_u32_e64 s[0:1], s18, v17
	v_cndmask_b32_e64 v17, 0, -1, s[0:1]
	v_cmp_eq_u32_e64 s[0:1], s19, v15
	v_cndmask_b32_e64 v15, v18, v17, s[0:1]
	v_add_co_u32_e64 v17, s[0:1], 2, v13
	v_subb_co_u32_e32 v11, vcc, v16, v11, vcc
	v_addc_co_u32_e64 v18, s[0:1], 0, v14, s[0:1]
	v_cmp_le_u32_e32 vcc, s19, v11
	v_add_co_u32_e64 v19, s[0:1], 1, v13
	v_cndmask_b32_e64 v16, 0, -1, vcc
	v_cmp_le_u32_e32 vcc, s18, v10
	v_addc_co_u32_e64 v20, s[0:1], 0, v14, s[0:1]
	v_cndmask_b32_e64 v10, 0, -1, vcc
	v_cmp_eq_u32_e32 vcc, s19, v11
	v_cmp_ne_u32_e64 s[0:1], 0, v15
	v_cndmask_b32_e32 v10, v16, v10, vcc
	v_cndmask_b32_e64 v15, v20, v18, s[0:1]
	v_cmp_ne_u32_e32 vcc, 0, v10
	v_cndmask_b32_e64 v11, v19, v17, s[0:1]
	v_cndmask_b32_e32 v10, v14, v15, vcc
	v_cndmask_b32_e32 v11, v13, v11, vcc
	v_xor_b32_e32 v13, v10, v7
	v_xor_b32_e32 v10, v11, v7
	v_sub_co_u32_e32 v10, vcc, v10, v7
	v_subb_co_u32_e32 v11, vcc, v13, v7, vcc
.LBB1_5:                                ;   in Loop: Header=BB1_3 Depth=1
	s_andn2_saveexec_b64 s[0:1], s[14:15]
	s_cbranch_execz .LBB1_7
; %bb.6:                                ;   in Loop: Header=BB1_3 Depth=1
	v_cvt_f32_u32_e32 v7, s12
	s_sub_i32 s14, 0, s12
	v_rcp_iflag_f32_e32 v7, v7
	v_mul_f32_e32 v7, 0x4f7ffffe, v7
	v_cvt_u32_f32_e32 v7, v7
	v_mul_lo_u32 v10, s14, v7
	v_mul_hi_u32 v10, v7, v10
	v_add_u32_e32 v7, v7, v10
	v_mul_hi_u32 v7, v8, v7
	v_mul_lo_u32 v10, v7, s12
	v_add_u32_e32 v11, 1, v7
	v_sub_u32_e32 v10, v8, v10
	v_subrev_u32_e32 v13, s12, v10
	v_cmp_le_u32_e32 vcc, s12, v10
	v_cndmask_b32_e32 v10, v10, v13, vcc
	v_cndmask_b32_e32 v7, v7, v11, vcc
	v_add_u32_e32 v11, 1, v7
	v_cmp_le_u32_e32 vcc, s12, v10
	v_cndmask_b32_e32 v10, v7, v11, vcc
	v_mov_b32_e32 v11, v6
.LBB1_7:                                ;   in Loop: Header=BB1_3 Depth=1
	s_or_b64 exec, exec, s[0:1]
	v_mul_lo_u32 v7, v11, s12
	v_mul_lo_u32 v15, v10, s13
	v_mad_u64_u32 v[13:14], s[0:1], v10, s12, 0
	s_load_dwordx2 s[0:1], s[6:7], 0xc8
	s_add_i32 s21, s21, -1
	v_add3_u32 v7, v14, v15, v7
	v_sub_co_u32_e32 v8, vcc, v8, v13
	v_subb_co_u32_e32 v7, vcc, v9, v7, vcc
	s_waitcnt lgkmcnt(0)
	v_mul_lo_u32 v7, s0, v7
	v_mul_lo_u32 v9, s1, v8
	v_mad_u64_u32 v[4:5], s[0:1], s0, v8, v[4:5]
	s_add_u32 s6, s6, -8
	s_addc_u32 s7, s7, -1
	s_cmp_gt_u32 s21, 2
	v_add3_u32 v5, v9, v5, v7
	s_cbranch_scc0 .LBB1_10
; %bb.8:                                ;   in Loop: Header=BB1_3 Depth=1
	v_mov_b32_e32 v8, v10
	v_mov_b32_e32 v9, v11
	s_branch .LBB1_3
.LBB1_9:
	v_mov_b32_e32 v11, v1
	v_mov_b32_e32 v10, v0
.LBB1_10:
	s_load_dwordx2 s[6:7], s[4:5], 0x1a8
	s_load_dword s1, s[2:3], 0xd0
	s_load_dwordx2 s[12:13], s[2:3], 0x0
	v_mul_lo_u32 v3, v3, s11
	v_mul_lo_u32 v9, v2, s8
	s_ashr_i32 s0, s20, 31
	s_waitcnt lgkmcnt(0)
	v_mad_u64_u32 v[4:5], s[2:3], s1, v10, v[4:5]
	v_mov_b32_e32 v5, 0
	v_mov_b32_e32 v7, s13
	;; [unrolled: 1-line block ×3, first 2 shown]
	v_ashrrev_i64 v[4:5], 29, v[5:6]
	s_load_dwordx2 s[2:3], s[4:5], 0x0
	v_add_co_u32_e32 v4, vcc, s12, v4
	v_addc_co_u32_e32 v5, vcc, v7, v5, vcc
	global_load_dwordx2 v[4:5], v[4:5], off
	v_lshlrev_b64 v[6:7], 2, v[0:1]
	v_sub_u32_e32 v0, v12, v3
	v_sub_u32_e32 v3, v12, v9
	v_add_u32_e32 v10, 1, v2
	v_cmp_le_u32_e32 vcc, s8, v3
	v_xor_b32_e32 v8, s0, v1
	v_subrev_u32_e32 v9, s11, v0
	v_cndmask_b32_e32 v10, v2, v10, vcc
	v_subrev_u32_e32 v2, s8, v3
	v_cmp_le_u32_e64 s[0:1], s11, v0
	s_waitcnt lgkmcnt(0)
	v_mov_b32_e32 v12, s3
	v_cndmask_b32_e64 v0, v0, v9, s[0:1]
	v_cndmask_b32_e32 v9, v3, v2, vcc
	v_add_co_u32_e32 v2, vcc, s2, v6
	v_addc_co_u32_e32 v3, vcc, v12, v7, vcc
	v_cmp_le_u32_e32 vcc, s8, v9
	global_load_dword v9, v[2:3], off
	v_add_u32_e32 v13, 1, v10
	v_subrev_u32_e32 v6, s11, v0
	v_cndmask_b32_e32 v7, v10, v13, vcc
	v_cmp_le_u32_e32 vcc, s11, v0
	v_cndmask_b32_e32 v0, v0, v6, vcc
	v_xor_b32_e32 v2, v7, v8
	s_mul_i32 s4, s10, s9
	v_xor_b32_e32 v3, v0, v1
	v_sub_u32_e32 v0, v2, v8
	v_mul_lo_u32 v0, s4, v0
	s_ashr_i32 s5, s9, 31
	v_sub_u32_e32 v1, v3, v1
	v_ashrrev_i32_e32 v2, 31, v1
	v_lshlrev_b64 v[2:3], 2, v[1:2]
	v_ashrrev_i32_e32 v1, 31, v0
	v_lshlrev_b64 v[0:1], 2, v[0:1]
	v_mov_b32_e32 v11, s7
	v_add_co_u32_e32 v8, vcc, s6, v0
	v_addc_co_u32_e32 v10, vcc, v11, v1, vcc
	s_waitcnt vmcnt(1)
	v_mul_lo_u32 v6, v4, s5
	v_mul_lo_u32 v7, v5, s9
	v_mad_u64_u32 v[4:5], s[0:1], v4, s9, 0
	s_mov_b64 s[0:1], 0
	v_add3_u32 v5, v5, v6, v7
	v_lshlrev_b64 v[0:1], 2, v[4:5]
	v_add_co_u32_e32 v0, vcc, v8, v0
	v_addc_co_u32_e32 v1, vcc, v10, v1, vcc
	v_add_co_u32_e32 v0, vcc, v0, v2
	v_addc_co_u32_e32 v1, vcc, v1, v3, vcc
	global_load_dword v3, v[0:1], off glc
	s_waitcnt vmcnt(1)
	v_sub_u32_e32 v2, 0, v9
	v_max_i32_e32 v4, v9, v2
	v_cvt_f32_u32_e32 v2, v4
	v_sub_u32_e32 v5, 0, v4
	v_rcp_iflag_f32_e32 v2, v2
	v_mul_f32_e32 v2, 0x4f7ffffe, v2
	v_cvt_u32_f32_e32 v2, v2
	v_mul_lo_u32 v5, v5, v2
	v_mul_hi_u32 v6, v2, v5
	v_ashrrev_i32_e32 v5, 31, v9
	v_add_u32_e32 v6, v2, v6
.LBB1_11:                               ; =>This Inner Loop Header: Depth=1
	s_waitcnt vmcnt(0)
	v_sub_u32_e32 v7, 0, v3
	v_max_i32_e32 v7, v3, v7
	v_mul_hi_u32 v8, v7, v6
	v_ashrrev_i32_e32 v2, 31, v3
	v_xor_b32_e32 v2, v2, v5
	v_mul_lo_u32 v9, v8, v4
	v_add_u32_e32 v10, 1, v8
	v_sub_u32_e32 v7, v7, v9
	v_cmp_ge_u32_e32 vcc, v7, v4
	v_sub_u32_e32 v9, v7, v4
	v_cndmask_b32_e32 v8, v8, v10, vcc
	v_cndmask_b32_e32 v7, v7, v9, vcc
	v_add_u32_e32 v9, 1, v8
	v_cmp_ge_u32_e32 vcc, v7, v4
	v_cndmask_b32_e32 v7, v8, v9, vcc
	v_xor_b32_e32 v7, v7, v2
	v_sub_u32_e32 v2, v7, v2
	global_atomic_cmpswap v2, v[0:1], v[2:3], off glc
	s_waitcnt vmcnt(0)
	v_cmp_eq_u32_e32 vcc, v3, v2
	s_or_b64 s[0:1], vcc, s[0:1]
	v_mov_b32_e32 v3, v2
	s_andn2_b64 exec, exec, s[0:1]
	s_cbranch_execnz .LBB1_11
.LBB1_12:
	s_endpgm
	.section	.rodata,"a",@progbits
	.p2align	6, 0x0
	.amdhsa_kernel _Z14scatter_kernelIiL13ReductionType2EEvPKT_10TensorInfoIllEPS1_iiii
		.amdhsa_group_segment_fixed_size 0
		.amdhsa_private_segment_fixed_size 0
		.amdhsa_kernarg_size 704
		.amdhsa_user_sgpr_count 6
		.amdhsa_user_sgpr_private_segment_buffer 1
		.amdhsa_user_sgpr_dispatch_ptr 0
		.amdhsa_user_sgpr_queue_ptr 0
		.amdhsa_user_sgpr_kernarg_segment_ptr 1
		.amdhsa_user_sgpr_dispatch_id 0
		.amdhsa_user_sgpr_flat_scratch_init 0
		.amdhsa_user_sgpr_private_segment_size 0
		.amdhsa_uses_dynamic_stack 0
		.amdhsa_system_sgpr_private_segment_wavefront_offset 0
		.amdhsa_system_sgpr_workgroup_id_x 1
		.amdhsa_system_sgpr_workgroup_id_y 0
		.amdhsa_system_sgpr_workgroup_id_z 0
		.amdhsa_system_sgpr_workgroup_info 0
		.amdhsa_system_vgpr_workitem_id 0
		.amdhsa_next_free_vgpr 21
		.amdhsa_next_free_sgpr 29
		.amdhsa_reserve_vcc 1
		.amdhsa_reserve_flat_scratch 0
		.amdhsa_float_round_mode_32 0
		.amdhsa_float_round_mode_16_64 0
		.amdhsa_float_denorm_mode_32 3
		.amdhsa_float_denorm_mode_16_64 3
		.amdhsa_dx10_clamp 1
		.amdhsa_ieee_mode 1
		.amdhsa_fp16_overflow 0
		.amdhsa_exception_fp_ieee_invalid_op 0
		.amdhsa_exception_fp_denorm_src 0
		.amdhsa_exception_fp_ieee_div_zero 0
		.amdhsa_exception_fp_ieee_overflow 0
		.amdhsa_exception_fp_ieee_underflow 0
		.amdhsa_exception_fp_ieee_inexact 0
		.amdhsa_exception_int_div_zero 0
	.end_amdhsa_kernel
	.section	.text._Z14scatter_kernelIiL13ReductionType2EEvPKT_10TensorInfoIllEPS1_iiii,"axG",@progbits,_Z14scatter_kernelIiL13ReductionType2EEvPKT_10TensorInfoIllEPS1_iiii,comdat
.Lfunc_end1:
	.size	_Z14scatter_kernelIiL13ReductionType2EEvPKT_10TensorInfoIllEPS1_iiii, .Lfunc_end1-_Z14scatter_kernelIiL13ReductionType2EEvPKT_10TensorInfoIllEPS1_iiii
                                        ; -- End function
	.set _Z14scatter_kernelIiL13ReductionType2EEvPKT_10TensorInfoIllEPS1_iiii.num_vgpr, 21
	.set _Z14scatter_kernelIiL13ReductionType2EEvPKT_10TensorInfoIllEPS1_iiii.num_agpr, 0
	.set _Z14scatter_kernelIiL13ReductionType2EEvPKT_10TensorInfoIllEPS1_iiii.numbered_sgpr, 29
	.set _Z14scatter_kernelIiL13ReductionType2EEvPKT_10TensorInfoIllEPS1_iiii.num_named_barrier, 0
	.set _Z14scatter_kernelIiL13ReductionType2EEvPKT_10TensorInfoIllEPS1_iiii.private_seg_size, 0
	.set _Z14scatter_kernelIiL13ReductionType2EEvPKT_10TensorInfoIllEPS1_iiii.uses_vcc, 1
	.set _Z14scatter_kernelIiL13ReductionType2EEvPKT_10TensorInfoIllEPS1_iiii.uses_flat_scratch, 0
	.set _Z14scatter_kernelIiL13ReductionType2EEvPKT_10TensorInfoIllEPS1_iiii.has_dyn_sized_stack, 0
	.set _Z14scatter_kernelIiL13ReductionType2EEvPKT_10TensorInfoIllEPS1_iiii.has_recursion, 0
	.set _Z14scatter_kernelIiL13ReductionType2EEvPKT_10TensorInfoIllEPS1_iiii.has_indirect_call, 0
	.section	.AMDGPU.csdata,"",@progbits
; Kernel info:
; codeLenInByte = 1660
; TotalNumSgprs: 33
; NumVgprs: 21
; ScratchSize: 0
; MemoryBound: 0
; FloatMode: 240
; IeeeMode: 1
; LDSByteSize: 0 bytes/workgroup (compile time only)
; SGPRBlocks: 4
; VGPRBlocks: 5
; NumSGPRsForWavesPerEU: 33
; NumVGPRsForWavesPerEU: 21
; Occupancy: 10
; WaveLimiterHint : 1
; COMPUTE_PGM_RSRC2:SCRATCH_EN: 0
; COMPUTE_PGM_RSRC2:USER_SGPR: 6
; COMPUTE_PGM_RSRC2:TRAP_HANDLER: 0
; COMPUTE_PGM_RSRC2:TGID_X_EN: 1
; COMPUTE_PGM_RSRC2:TGID_Y_EN: 0
; COMPUTE_PGM_RSRC2:TGID_Z_EN: 0
; COMPUTE_PGM_RSRC2:TIDIG_COMP_CNT: 0
	.section	.text._Z14scatter_kernelIiL13ReductionType0EEvPKT_10TensorInfoIllEPS1_iiii,"axG",@progbits,_Z14scatter_kernelIiL13ReductionType0EEvPKT_10TensorInfoIllEPS1_iiii,comdat
	.protected	_Z14scatter_kernelIiL13ReductionType0EEvPKT_10TensorInfoIllEPS1_iiii ; -- Begin function _Z14scatter_kernelIiL13ReductionType0EEvPKT_10TensorInfoIllEPS1_iiii
	.globl	_Z14scatter_kernelIiL13ReductionType0EEvPKT_10TensorInfoIllEPS1_iiii
	.p2align	8
	.type	_Z14scatter_kernelIiL13ReductionType0EEvPKT_10TensorInfoIllEPS1_iiii,@function
_Z14scatter_kernelIiL13ReductionType0EEvPKT_10TensorInfoIllEPS1_iiii: ; @_Z14scatter_kernelIiL13ReductionType0EEvPKT_10TensorInfoIllEPS1_iiii
; %bb.0:
	s_load_dword s0, s[4:5], 0x1cc
	s_load_dwordx4 s[8:11], s[4:5], 0x1b0
	s_waitcnt lgkmcnt(0)
	s_and_b32 s0, s0, 0xffff
	s_mul_i32 s6, s6, s0
	v_add_u32_e32 v0, s6, v0
	v_cmp_gt_i32_e32 vcc, s11, v0
	s_and_saveexec_b64 s[0:1], vcc
	s_cbranch_execz .LBB2_11
; %bb.1:
	s_add_u32 s2, s4, 8
	s_addc_u32 s3, s5, 0
	s_abs_i32 s11, s9
	s_mul_i32 s20, s9, s8
	v_cvt_f32_u32_e32 v1, s11
	s_abs_i32 s8, s20
	v_cvt_f32_u32_e32 v2, s8
	s_sub_i32 s0, 0, s11
	v_rcp_iflag_f32_e32 v1, v1
	v_sub_u32_e32 v5, 0, v0
	v_rcp_iflag_f32_e32 v2, v2
	v_max_i32_e32 v12, v0, v5
	v_mul_f32_e32 v1, 0x4f7ffffe, v1
	v_cvt_u32_f32_e32 v1, v1
	v_mul_f32_e32 v2, 0x4f7ffffe, v2
	v_cvt_u32_f32_e32 v4, v2
	s_mov_b32 s1, 0
	v_mul_lo_u32 v2, s0, v1
	s_sub_i32 s0, 0, s8
	v_mul_lo_u32 v3, s0, v4
	s_load_dword s0, s[4:5], 0x1a0
	v_mul_hi_u32 v2, v1, v2
	v_mul_hi_u32 v5, v4, v3
	v_add_u32_e32 v1, v1, v2
	v_mad_u64_u32 v[2:3], s[6:7], v12, v1, 0
	v_add_u32_e32 v1, v4, v5
	v_mad_u64_u32 v[1:2], s[6:7], v12, v1, 0
	v_mov_b32_e32 v4, 0
	s_waitcnt lgkmcnt(0)
	s_cmp_lt_i32 s0, 2
	v_ashrrev_i32_e32 v1, 31, v0
	v_mov_b32_e32 v5, 0
	s_cbranch_scc1 .LBB2_9
; %bb.2:
	s_add_i32 s21, s0, 1
	s_add_i32 s0, s0, -1
	s_lshl_b64 s[0:1], s[0:1], 3
	s_add_u32 s0, s2, s0
	s_addc_u32 s1, s3, s1
	s_add_u32 s6, s0, 8
	v_mov_b32_e32 v4, 0
	v_mov_b32_e32 v9, v1
	s_addc_u32 s7, s1, 0
	v_mov_b32_e32 v5, 0
	v_mov_b32_e32 v6, 0
	;; [unrolled: 1-line block ×3, first 2 shown]
.LBB2_3:                                ; =>This Inner Loop Header: Depth=1
	s_load_dwordx2 s[12:13], s[6:7], 0x0
                                        ; implicit-def: $vgpr10_vgpr11
	s_waitcnt lgkmcnt(0)
	v_or_b32_e32 v7, s13, v9
	v_cmp_ne_u64_e32 vcc, 0, v[6:7]
	s_and_saveexec_b64 s[0:1], vcc
	s_xor_b64 s[14:15], exec, s[0:1]
	s_cbranch_execz .LBB2_5
; %bb.4:                                ;   in Loop: Header=BB2_3 Depth=1
	s_ashr_i32 s16, s13, 31
	s_add_u32 s0, s12, s16
	s_mov_b32 s17, s16
	s_addc_u32 s1, s13, s16
	s_xor_b64 s[18:19], s[0:1], s[16:17]
	v_cvt_f32_u32_e32 v7, s18
	v_cvt_f32_u32_e32 v10, s19
	s_sub_u32 s17, 0, s18
	s_subb_u32 s22, 0, s19
	v_mac_f32_e32 v7, 0x4f800000, v10
	v_rcp_f32_e32 v7, v7
	v_mul_f32_e32 v7, 0x5f7ffffc, v7
	v_mul_f32_e32 v10, 0x2f800000, v7
	v_trunc_f32_e32 v10, v10
	v_mac_f32_e32 v7, 0xcf800000, v10
	v_cvt_u32_f32_e32 v10, v10
	v_cvt_u32_f32_e32 v7, v7
	v_readfirstlane_b32 s23, v10
	v_readfirstlane_b32 s0, v7
	s_mul_i32 s1, s17, s23
	s_mul_hi_u32 s25, s17, s0
	s_mul_i32 s24, s22, s0
	s_add_i32 s1, s25, s1
	s_add_i32 s1, s1, s24
	s_mul_i32 s26, s17, s0
	s_mul_i32 s25, s0, s1
	s_mul_hi_u32 s27, s0, s26
	s_mul_hi_u32 s24, s0, s1
	s_add_u32 s25, s27, s25
	s_addc_u32 s24, 0, s24
	s_mul_hi_u32 s28, s23, s26
	s_mul_i32 s26, s23, s26
	s_add_u32 s25, s25, s26
	s_mul_hi_u32 s27, s23, s1
	s_addc_u32 s24, s24, s28
	s_addc_u32 s25, s27, 0
	s_mul_i32 s1, s23, s1
	s_add_u32 s1, s24, s1
	s_addc_u32 s24, 0, s25
	s_add_u32 s25, s0, s1
	s_cselect_b64 s[0:1], -1, 0
	s_cmp_lg_u64 s[0:1], 0
	s_addc_u32 s23, s23, s24
	s_mul_i32 s0, s17, s23
	s_mul_hi_u32 s1, s17, s25
	s_add_i32 s0, s1, s0
	s_mul_i32 s22, s22, s25
	s_add_i32 s0, s0, s22
	s_mul_i32 s17, s17, s25
	s_mul_hi_u32 s22, s23, s17
	s_mul_i32 s24, s23, s17
	s_mul_i32 s27, s25, s0
	s_mul_hi_u32 s17, s25, s17
	s_mul_hi_u32 s26, s25, s0
	s_add_u32 s17, s17, s27
	s_addc_u32 s26, 0, s26
	s_add_u32 s17, s17, s24
	s_mul_hi_u32 s1, s23, s0
	s_addc_u32 s17, s26, s22
	s_addc_u32 s1, s1, 0
	s_mul_i32 s0, s23, s0
	s_add_u32 s0, s17, s0
	s_addc_u32 s17, 0, s1
	s_add_u32 s22, s25, s0
	s_cselect_b64 s[0:1], -1, 0
	v_ashrrev_i32_e32 v7, 31, v9
	s_cmp_lg_u64 s[0:1], 0
	v_add_co_u32_e32 v10, vcc, v8, v7
	s_addc_u32 s17, s23, s17
	v_xor_b32_e32 v15, v10, v7
	v_mad_u64_u32 v[10:11], s[0:1], v15, s17, 0
	v_mul_hi_u32 v14, v15, s22
	v_addc_co_u32_e32 v13, vcc, v9, v7, vcc
	v_xor_b32_e32 v16, v13, v7
	v_add_co_u32_e32 v17, vcc, v14, v10
	v_addc_co_u32_e32 v18, vcc, 0, v11, vcc
	v_mad_u64_u32 v[10:11], s[0:1], v16, s22, 0
	v_mad_u64_u32 v[13:14], s[0:1], v16, s17, 0
	v_add_co_u32_e32 v10, vcc, v17, v10
	v_addc_co_u32_e32 v10, vcc, v18, v11, vcc
	v_addc_co_u32_e32 v11, vcc, 0, v14, vcc
	v_add_co_u32_e32 v13, vcc, v10, v13
	v_addc_co_u32_e32 v14, vcc, 0, v11, vcc
	v_mul_lo_u32 v17, s19, v13
	v_mul_lo_u32 v18, s18, v14
	v_mad_u64_u32 v[10:11], s[0:1], s18, v13, 0
	v_xor_b32_e32 v7, s16, v7
	v_add3_u32 v11, v11, v18, v17
	v_sub_u32_e32 v17, v16, v11
	v_mov_b32_e32 v18, s19
	v_sub_co_u32_e32 v10, vcc, v15, v10
	v_subb_co_u32_e64 v15, s[0:1], v17, v18, vcc
	v_subrev_co_u32_e64 v17, s[0:1], s18, v10
	v_subbrev_co_u32_e64 v15, s[0:1], 0, v15, s[0:1]
	v_cmp_le_u32_e64 s[0:1], s19, v15
	v_cndmask_b32_e64 v18, 0, -1, s[0:1]
	v_cmp_le_u32_e64 s[0:1], s18, v17
	v_cndmask_b32_e64 v17, 0, -1, s[0:1]
	v_cmp_eq_u32_e64 s[0:1], s19, v15
	v_cndmask_b32_e64 v15, v18, v17, s[0:1]
	v_add_co_u32_e64 v17, s[0:1], 2, v13
	v_subb_co_u32_e32 v11, vcc, v16, v11, vcc
	v_addc_co_u32_e64 v18, s[0:1], 0, v14, s[0:1]
	v_cmp_le_u32_e32 vcc, s19, v11
	v_add_co_u32_e64 v19, s[0:1], 1, v13
	v_cndmask_b32_e64 v16, 0, -1, vcc
	v_cmp_le_u32_e32 vcc, s18, v10
	v_addc_co_u32_e64 v20, s[0:1], 0, v14, s[0:1]
	v_cndmask_b32_e64 v10, 0, -1, vcc
	v_cmp_eq_u32_e32 vcc, s19, v11
	v_cmp_ne_u32_e64 s[0:1], 0, v15
	v_cndmask_b32_e32 v10, v16, v10, vcc
	v_cndmask_b32_e64 v15, v20, v18, s[0:1]
	v_cmp_ne_u32_e32 vcc, 0, v10
	v_cndmask_b32_e64 v11, v19, v17, s[0:1]
	v_cndmask_b32_e32 v10, v14, v15, vcc
	v_cndmask_b32_e32 v11, v13, v11, vcc
	v_xor_b32_e32 v13, v10, v7
	v_xor_b32_e32 v10, v11, v7
	v_sub_co_u32_e32 v10, vcc, v10, v7
	v_subb_co_u32_e32 v11, vcc, v13, v7, vcc
.LBB2_5:                                ;   in Loop: Header=BB2_3 Depth=1
	s_andn2_saveexec_b64 s[0:1], s[14:15]
	s_cbranch_execz .LBB2_7
; %bb.6:                                ;   in Loop: Header=BB2_3 Depth=1
	v_cvt_f32_u32_e32 v7, s12
	s_sub_i32 s14, 0, s12
	v_rcp_iflag_f32_e32 v7, v7
	v_mul_f32_e32 v7, 0x4f7ffffe, v7
	v_cvt_u32_f32_e32 v7, v7
	v_mul_lo_u32 v10, s14, v7
	v_mul_hi_u32 v10, v7, v10
	v_add_u32_e32 v7, v7, v10
	v_mul_hi_u32 v7, v8, v7
	v_mul_lo_u32 v10, v7, s12
	v_add_u32_e32 v11, 1, v7
	v_sub_u32_e32 v10, v8, v10
	v_subrev_u32_e32 v13, s12, v10
	v_cmp_le_u32_e32 vcc, s12, v10
	v_cndmask_b32_e32 v10, v10, v13, vcc
	v_cndmask_b32_e32 v7, v7, v11, vcc
	v_add_u32_e32 v11, 1, v7
	v_cmp_le_u32_e32 vcc, s12, v10
	v_cndmask_b32_e32 v10, v7, v11, vcc
	v_mov_b32_e32 v11, v6
.LBB2_7:                                ;   in Loop: Header=BB2_3 Depth=1
	s_or_b64 exec, exec, s[0:1]
	v_mul_lo_u32 v7, v11, s12
	v_mul_lo_u32 v15, v10, s13
	v_mad_u64_u32 v[13:14], s[0:1], v10, s12, 0
	s_load_dwordx2 s[0:1], s[6:7], 0xc8
	s_add_i32 s21, s21, -1
	v_add3_u32 v7, v14, v15, v7
	v_sub_co_u32_e32 v8, vcc, v8, v13
	v_subb_co_u32_e32 v7, vcc, v9, v7, vcc
	s_waitcnt lgkmcnt(0)
	v_mul_lo_u32 v7, s0, v7
	v_mul_lo_u32 v9, s1, v8
	v_mad_u64_u32 v[4:5], s[0:1], s0, v8, v[4:5]
	s_add_u32 s6, s6, -8
	s_addc_u32 s7, s7, -1
	s_cmp_gt_u32 s21, 2
	v_add3_u32 v5, v9, v5, v7
	s_cbranch_scc0 .LBB2_10
; %bb.8:                                ;   in Loop: Header=BB2_3 Depth=1
	v_mov_b32_e32 v8, v10
	v_mov_b32_e32 v9, v11
	s_branch .LBB2_3
.LBB2_9:
	v_mov_b32_e32 v11, v1
	v_mov_b32_e32 v10, v0
.LBB2_10:
	s_load_dwordx2 s[6:7], s[4:5], 0x1a8
	s_load_dword s1, s[2:3], 0xd0
	s_load_dwordx2 s[12:13], s[2:3], 0x0
	v_add_u32_e32 v8, 1, v2
	s_ashr_i32 s0, s20, 31
	s_waitcnt lgkmcnt(0)
	v_mad_u64_u32 v[4:5], s[2:3], s1, v10, v[4:5]
	v_mov_b32_e32 v5, 0
	v_mov_b32_e32 v7, s13
	;; [unrolled: 1-line block ×3, first 2 shown]
	v_ashrrev_i64 v[4:5], 29, v[5:6]
	s_load_dwordx2 s[2:3], s[4:5], 0x0
	v_add_co_u32_e32 v4, vcc, s12, v4
	v_addc_co_u32_e32 v5, vcc, v7, v5, vcc
	global_load_dwordx2 v[4:5], v[4:5], off
	v_lshlrev_b64 v[6:7], 2, v[0:1]
	s_waitcnt lgkmcnt(0)
	v_mov_b32_e32 v0, s3
	v_add_co_u32_e32 v6, vcc, s2, v6
	v_addc_co_u32_e32 v7, vcc, v0, v7, vcc
	global_load_dword v6, v[6:7], off
	v_mul_lo_u32 v7, v2, s8
	v_mul_lo_u32 v0, v3, s11
	v_xor_b32_e32 v3, s0, v1
	s_mul_i32 s2, s10, s9
	v_sub_u32_e32 v7, v12, v7
	v_cmp_le_u32_e32 vcc, s8, v7
	v_sub_u32_e32 v0, v12, v0
	v_cndmask_b32_e32 v2, v2, v8, vcc
	v_subrev_u32_e32 v8, s8, v7
	v_subrev_u32_e32 v9, s11, v0
	v_cmp_le_u32_e64 s[0:1], s11, v0
	v_cndmask_b32_e32 v7, v7, v8, vcc
	v_cndmask_b32_e64 v0, v0, v9, s[0:1]
	v_add_u32_e32 v8, 1, v2
	v_cmp_le_u32_e32 vcc, s8, v7
	v_subrev_u32_e32 v9, s11, v0
	v_cndmask_b32_e32 v2, v2, v8, vcc
	v_cmp_le_u32_e32 vcc, s11, v0
	v_cndmask_b32_e32 v0, v0, v9, vcc
	v_xor_b32_e32 v2, v2, v3
	v_xor_b32_e32 v7, v0, v1
	v_sub_u32_e32 v0, v2, v3
	v_mul_lo_u32 v0, s2, v0
	s_ashr_i32 s3, s9, 31
	v_sub_u32_e32 v1, v7, v1
	v_ashrrev_i32_e32 v2, 31, v1
	v_lshlrev_b64 v[2:3], 2, v[1:2]
	v_ashrrev_i32_e32 v1, 31, v0
	v_lshlrev_b64 v[0:1], 2, v[0:1]
	v_mov_b32_e32 v10, s7
	v_add_co_u32_e32 v9, vcc, s6, v0
	v_addc_co_u32_e32 v10, vcc, v10, v1, vcc
	s_waitcnt vmcnt(1)
	v_mul_lo_u32 v7, v4, s3
	v_mul_lo_u32 v8, v5, s9
	v_mad_u64_u32 v[4:5], s[0:1], v4, s9, 0
	v_add3_u32 v5, v5, v7, v8
	v_lshlrev_b64 v[0:1], 2, v[4:5]
	v_add_co_u32_e32 v0, vcc, v9, v0
	v_addc_co_u32_e32 v1, vcc, v10, v1, vcc
	v_add_co_u32_e32 v0, vcc, v0, v2
	v_addc_co_u32_e32 v1, vcc, v1, v3, vcc
	s_waitcnt vmcnt(0)
	global_atomic_add v[0:1], v6, off
.LBB2_11:
	s_endpgm
	.section	.rodata,"a",@progbits
	.p2align	6, 0x0
	.amdhsa_kernel _Z14scatter_kernelIiL13ReductionType0EEvPKT_10TensorInfoIllEPS1_iiii
		.amdhsa_group_segment_fixed_size 0
		.amdhsa_private_segment_fixed_size 0
		.amdhsa_kernarg_size 704
		.amdhsa_user_sgpr_count 6
		.amdhsa_user_sgpr_private_segment_buffer 1
		.amdhsa_user_sgpr_dispatch_ptr 0
		.amdhsa_user_sgpr_queue_ptr 0
		.amdhsa_user_sgpr_kernarg_segment_ptr 1
		.amdhsa_user_sgpr_dispatch_id 0
		.amdhsa_user_sgpr_flat_scratch_init 0
		.amdhsa_user_sgpr_private_segment_size 0
		.amdhsa_uses_dynamic_stack 0
		.amdhsa_system_sgpr_private_segment_wavefront_offset 0
		.amdhsa_system_sgpr_workgroup_id_x 1
		.amdhsa_system_sgpr_workgroup_id_y 0
		.amdhsa_system_sgpr_workgroup_id_z 0
		.amdhsa_system_sgpr_workgroup_info 0
		.amdhsa_system_vgpr_workitem_id 0
		.amdhsa_next_free_vgpr 21
		.amdhsa_next_free_sgpr 29
		.amdhsa_reserve_vcc 1
		.amdhsa_reserve_flat_scratch 0
		.amdhsa_float_round_mode_32 0
		.amdhsa_float_round_mode_16_64 0
		.amdhsa_float_denorm_mode_32 3
		.amdhsa_float_denorm_mode_16_64 3
		.amdhsa_dx10_clamp 1
		.amdhsa_ieee_mode 1
		.amdhsa_fp16_overflow 0
		.amdhsa_exception_fp_ieee_invalid_op 0
		.amdhsa_exception_fp_denorm_src 0
		.amdhsa_exception_fp_ieee_div_zero 0
		.amdhsa_exception_fp_ieee_overflow 0
		.amdhsa_exception_fp_ieee_underflow 0
		.amdhsa_exception_fp_ieee_inexact 0
		.amdhsa_exception_int_div_zero 0
	.end_amdhsa_kernel
	.section	.text._Z14scatter_kernelIiL13ReductionType0EEvPKT_10TensorInfoIllEPS1_iiii,"axG",@progbits,_Z14scatter_kernelIiL13ReductionType0EEvPKT_10TensorInfoIllEPS1_iiii,comdat
.Lfunc_end2:
	.size	_Z14scatter_kernelIiL13ReductionType0EEvPKT_10TensorInfoIllEPS1_iiii, .Lfunc_end2-_Z14scatter_kernelIiL13ReductionType0EEvPKT_10TensorInfoIllEPS1_iiii
                                        ; -- End function
	.set _Z14scatter_kernelIiL13ReductionType0EEvPKT_10TensorInfoIllEPS1_iiii.num_vgpr, 21
	.set _Z14scatter_kernelIiL13ReductionType0EEvPKT_10TensorInfoIllEPS1_iiii.num_agpr, 0
	.set _Z14scatter_kernelIiL13ReductionType0EEvPKT_10TensorInfoIllEPS1_iiii.numbered_sgpr, 29
	.set _Z14scatter_kernelIiL13ReductionType0EEvPKT_10TensorInfoIllEPS1_iiii.num_named_barrier, 0
	.set _Z14scatter_kernelIiL13ReductionType0EEvPKT_10TensorInfoIllEPS1_iiii.private_seg_size, 0
	.set _Z14scatter_kernelIiL13ReductionType0EEvPKT_10TensorInfoIllEPS1_iiii.uses_vcc, 1
	.set _Z14scatter_kernelIiL13ReductionType0EEvPKT_10TensorInfoIllEPS1_iiii.uses_flat_scratch, 0
	.set _Z14scatter_kernelIiL13ReductionType0EEvPKT_10TensorInfoIllEPS1_iiii.has_dyn_sized_stack, 0
	.set _Z14scatter_kernelIiL13ReductionType0EEvPKT_10TensorInfoIllEPS1_iiii.has_recursion, 0
	.set _Z14scatter_kernelIiL13ReductionType0EEvPKT_10TensorInfoIllEPS1_iiii.has_indirect_call, 0
	.section	.AMDGPU.csdata,"",@progbits
; Kernel info:
; codeLenInByte = 1488
; TotalNumSgprs: 33
; NumVgprs: 21
; ScratchSize: 0
; MemoryBound: 0
; FloatMode: 240
; IeeeMode: 1
; LDSByteSize: 0 bytes/workgroup (compile time only)
; SGPRBlocks: 4
; VGPRBlocks: 5
; NumSGPRsForWavesPerEU: 33
; NumVGPRsForWavesPerEU: 21
; Occupancy: 10
; WaveLimiterHint : 1
; COMPUTE_PGM_RSRC2:SCRATCH_EN: 0
; COMPUTE_PGM_RSRC2:USER_SGPR: 6
; COMPUTE_PGM_RSRC2:TRAP_HANDLER: 0
; COMPUTE_PGM_RSRC2:TGID_X_EN: 1
; COMPUTE_PGM_RSRC2:TGID_Y_EN: 0
; COMPUTE_PGM_RSRC2:TGID_Z_EN: 0
; COMPUTE_PGM_RSRC2:TIDIG_COMP_CNT: 0
	.section	.text._Z14scatter_kernelIiL13ReductionType3EEvPKT_10TensorInfoIllEPS1_iiii,"axG",@progbits,_Z14scatter_kernelIiL13ReductionType3EEvPKT_10TensorInfoIllEPS1_iiii,comdat
	.protected	_Z14scatter_kernelIiL13ReductionType3EEvPKT_10TensorInfoIllEPS1_iiii ; -- Begin function _Z14scatter_kernelIiL13ReductionType3EEvPKT_10TensorInfoIllEPS1_iiii
	.globl	_Z14scatter_kernelIiL13ReductionType3EEvPKT_10TensorInfoIllEPS1_iiii
	.p2align	8
	.type	_Z14scatter_kernelIiL13ReductionType3EEvPKT_10TensorInfoIllEPS1_iiii,@function
_Z14scatter_kernelIiL13ReductionType3EEvPKT_10TensorInfoIllEPS1_iiii: ; @_Z14scatter_kernelIiL13ReductionType3EEvPKT_10TensorInfoIllEPS1_iiii
; %bb.0:
	s_load_dword s0, s[4:5], 0x1cc
	s_load_dwordx4 s[8:11], s[4:5], 0x1b0
	s_waitcnt lgkmcnt(0)
	s_and_b32 s0, s0, 0xffff
	s_mul_i32 s6, s6, s0
	v_add_u32_e32 v0, s6, v0
	v_cmp_gt_i32_e32 vcc, s11, v0
	s_and_saveexec_b64 s[0:1], vcc
	s_cbranch_execz .LBB3_11
; %bb.1:
	s_add_u32 s2, s4, 8
	s_addc_u32 s3, s5, 0
	s_abs_i32 s11, s9
	s_mul_i32 s20, s9, s8
	v_cvt_f32_u32_e32 v1, s11
	s_abs_i32 s8, s20
	v_cvt_f32_u32_e32 v2, s8
	s_sub_i32 s0, 0, s11
	v_rcp_iflag_f32_e32 v1, v1
	v_sub_u32_e32 v5, 0, v0
	v_rcp_iflag_f32_e32 v2, v2
	v_max_i32_e32 v12, v0, v5
	v_mul_f32_e32 v1, 0x4f7ffffe, v1
	v_cvt_u32_f32_e32 v1, v1
	v_mul_f32_e32 v2, 0x4f7ffffe, v2
	v_cvt_u32_f32_e32 v4, v2
	s_mov_b32 s1, 0
	v_mul_lo_u32 v2, s0, v1
	s_sub_i32 s0, 0, s8
	v_mul_lo_u32 v3, s0, v4
	s_load_dword s0, s[4:5], 0x1a0
	v_mul_hi_u32 v2, v1, v2
	v_mul_hi_u32 v5, v4, v3
	v_add_u32_e32 v1, v1, v2
	v_mad_u64_u32 v[2:3], s[6:7], v12, v1, 0
	v_add_u32_e32 v1, v4, v5
	v_mad_u64_u32 v[1:2], s[6:7], v12, v1, 0
	v_mov_b32_e32 v4, 0
	s_waitcnt lgkmcnt(0)
	s_cmp_lt_i32 s0, 2
	v_ashrrev_i32_e32 v1, 31, v0
	v_mov_b32_e32 v5, 0
	s_cbranch_scc1 .LBB3_9
; %bb.2:
	s_add_i32 s21, s0, 1
	s_add_i32 s0, s0, -1
	s_lshl_b64 s[0:1], s[0:1], 3
	s_add_u32 s0, s2, s0
	s_addc_u32 s1, s3, s1
	s_add_u32 s6, s0, 8
	v_mov_b32_e32 v4, 0
	v_mov_b32_e32 v9, v1
	s_addc_u32 s7, s1, 0
	v_mov_b32_e32 v5, 0
	v_mov_b32_e32 v6, 0
	;; [unrolled: 1-line block ×3, first 2 shown]
.LBB3_3:                                ; =>This Inner Loop Header: Depth=1
	s_load_dwordx2 s[12:13], s[6:7], 0x0
                                        ; implicit-def: $vgpr10_vgpr11
	s_waitcnt lgkmcnt(0)
	v_or_b32_e32 v7, s13, v9
	v_cmp_ne_u64_e32 vcc, 0, v[6:7]
	s_and_saveexec_b64 s[0:1], vcc
	s_xor_b64 s[14:15], exec, s[0:1]
	s_cbranch_execz .LBB3_5
; %bb.4:                                ;   in Loop: Header=BB3_3 Depth=1
	s_ashr_i32 s16, s13, 31
	s_add_u32 s0, s12, s16
	s_mov_b32 s17, s16
	s_addc_u32 s1, s13, s16
	s_xor_b64 s[18:19], s[0:1], s[16:17]
	v_cvt_f32_u32_e32 v7, s18
	v_cvt_f32_u32_e32 v10, s19
	s_sub_u32 s17, 0, s18
	s_subb_u32 s22, 0, s19
	v_mac_f32_e32 v7, 0x4f800000, v10
	v_rcp_f32_e32 v7, v7
	v_mul_f32_e32 v7, 0x5f7ffffc, v7
	v_mul_f32_e32 v10, 0x2f800000, v7
	v_trunc_f32_e32 v10, v10
	v_mac_f32_e32 v7, 0xcf800000, v10
	v_cvt_u32_f32_e32 v10, v10
	v_cvt_u32_f32_e32 v7, v7
	v_readfirstlane_b32 s23, v10
	v_readfirstlane_b32 s0, v7
	s_mul_i32 s1, s17, s23
	s_mul_hi_u32 s25, s17, s0
	s_mul_i32 s24, s22, s0
	s_add_i32 s1, s25, s1
	s_add_i32 s1, s1, s24
	s_mul_i32 s26, s17, s0
	s_mul_i32 s25, s0, s1
	s_mul_hi_u32 s27, s0, s26
	s_mul_hi_u32 s24, s0, s1
	s_add_u32 s25, s27, s25
	s_addc_u32 s24, 0, s24
	s_mul_hi_u32 s28, s23, s26
	s_mul_i32 s26, s23, s26
	s_add_u32 s25, s25, s26
	s_mul_hi_u32 s27, s23, s1
	s_addc_u32 s24, s24, s28
	s_addc_u32 s25, s27, 0
	s_mul_i32 s1, s23, s1
	s_add_u32 s1, s24, s1
	s_addc_u32 s24, 0, s25
	s_add_u32 s25, s0, s1
	s_cselect_b64 s[0:1], -1, 0
	s_cmp_lg_u64 s[0:1], 0
	s_addc_u32 s23, s23, s24
	s_mul_i32 s0, s17, s23
	s_mul_hi_u32 s1, s17, s25
	s_add_i32 s0, s1, s0
	s_mul_i32 s22, s22, s25
	s_add_i32 s0, s0, s22
	s_mul_i32 s17, s17, s25
	s_mul_hi_u32 s22, s23, s17
	s_mul_i32 s24, s23, s17
	s_mul_i32 s27, s25, s0
	s_mul_hi_u32 s17, s25, s17
	s_mul_hi_u32 s26, s25, s0
	s_add_u32 s17, s17, s27
	s_addc_u32 s26, 0, s26
	s_add_u32 s17, s17, s24
	s_mul_hi_u32 s1, s23, s0
	s_addc_u32 s17, s26, s22
	s_addc_u32 s1, s1, 0
	s_mul_i32 s0, s23, s0
	s_add_u32 s0, s17, s0
	s_addc_u32 s17, 0, s1
	s_add_u32 s22, s25, s0
	s_cselect_b64 s[0:1], -1, 0
	v_ashrrev_i32_e32 v7, 31, v9
	s_cmp_lg_u64 s[0:1], 0
	v_add_co_u32_e32 v10, vcc, v8, v7
	s_addc_u32 s17, s23, s17
	v_xor_b32_e32 v15, v10, v7
	v_mad_u64_u32 v[10:11], s[0:1], v15, s17, 0
	v_mul_hi_u32 v14, v15, s22
	v_addc_co_u32_e32 v13, vcc, v9, v7, vcc
	v_xor_b32_e32 v16, v13, v7
	v_add_co_u32_e32 v17, vcc, v14, v10
	v_addc_co_u32_e32 v18, vcc, 0, v11, vcc
	v_mad_u64_u32 v[10:11], s[0:1], v16, s22, 0
	v_mad_u64_u32 v[13:14], s[0:1], v16, s17, 0
	v_add_co_u32_e32 v10, vcc, v17, v10
	v_addc_co_u32_e32 v10, vcc, v18, v11, vcc
	v_addc_co_u32_e32 v11, vcc, 0, v14, vcc
	v_add_co_u32_e32 v13, vcc, v10, v13
	v_addc_co_u32_e32 v14, vcc, 0, v11, vcc
	v_mul_lo_u32 v17, s19, v13
	v_mul_lo_u32 v18, s18, v14
	v_mad_u64_u32 v[10:11], s[0:1], s18, v13, 0
	v_xor_b32_e32 v7, s16, v7
	v_add3_u32 v11, v11, v18, v17
	v_sub_u32_e32 v17, v16, v11
	v_mov_b32_e32 v18, s19
	v_sub_co_u32_e32 v10, vcc, v15, v10
	v_subb_co_u32_e64 v15, s[0:1], v17, v18, vcc
	v_subrev_co_u32_e64 v17, s[0:1], s18, v10
	v_subbrev_co_u32_e64 v15, s[0:1], 0, v15, s[0:1]
	v_cmp_le_u32_e64 s[0:1], s19, v15
	v_cndmask_b32_e64 v18, 0, -1, s[0:1]
	v_cmp_le_u32_e64 s[0:1], s18, v17
	v_cndmask_b32_e64 v17, 0, -1, s[0:1]
	v_cmp_eq_u32_e64 s[0:1], s19, v15
	v_cndmask_b32_e64 v15, v18, v17, s[0:1]
	v_add_co_u32_e64 v17, s[0:1], 2, v13
	v_subb_co_u32_e32 v11, vcc, v16, v11, vcc
	v_addc_co_u32_e64 v18, s[0:1], 0, v14, s[0:1]
	v_cmp_le_u32_e32 vcc, s19, v11
	v_add_co_u32_e64 v19, s[0:1], 1, v13
	v_cndmask_b32_e64 v16, 0, -1, vcc
	v_cmp_le_u32_e32 vcc, s18, v10
	v_addc_co_u32_e64 v20, s[0:1], 0, v14, s[0:1]
	v_cndmask_b32_e64 v10, 0, -1, vcc
	v_cmp_eq_u32_e32 vcc, s19, v11
	v_cmp_ne_u32_e64 s[0:1], 0, v15
	v_cndmask_b32_e32 v10, v16, v10, vcc
	v_cndmask_b32_e64 v15, v20, v18, s[0:1]
	v_cmp_ne_u32_e32 vcc, 0, v10
	v_cndmask_b32_e64 v11, v19, v17, s[0:1]
	v_cndmask_b32_e32 v10, v14, v15, vcc
	v_cndmask_b32_e32 v11, v13, v11, vcc
	v_xor_b32_e32 v13, v10, v7
	v_xor_b32_e32 v10, v11, v7
	v_sub_co_u32_e32 v10, vcc, v10, v7
	v_subb_co_u32_e32 v11, vcc, v13, v7, vcc
.LBB3_5:                                ;   in Loop: Header=BB3_3 Depth=1
	s_andn2_saveexec_b64 s[0:1], s[14:15]
	s_cbranch_execz .LBB3_7
; %bb.6:                                ;   in Loop: Header=BB3_3 Depth=1
	v_cvt_f32_u32_e32 v7, s12
	s_sub_i32 s14, 0, s12
	v_rcp_iflag_f32_e32 v7, v7
	v_mul_f32_e32 v7, 0x4f7ffffe, v7
	v_cvt_u32_f32_e32 v7, v7
	v_mul_lo_u32 v10, s14, v7
	v_mul_hi_u32 v10, v7, v10
	v_add_u32_e32 v7, v7, v10
	v_mul_hi_u32 v7, v8, v7
	v_mul_lo_u32 v10, v7, s12
	v_add_u32_e32 v11, 1, v7
	v_sub_u32_e32 v10, v8, v10
	v_subrev_u32_e32 v13, s12, v10
	v_cmp_le_u32_e32 vcc, s12, v10
	v_cndmask_b32_e32 v10, v10, v13, vcc
	v_cndmask_b32_e32 v7, v7, v11, vcc
	v_add_u32_e32 v11, 1, v7
	v_cmp_le_u32_e32 vcc, s12, v10
	v_cndmask_b32_e32 v10, v7, v11, vcc
	v_mov_b32_e32 v11, v6
.LBB3_7:                                ;   in Loop: Header=BB3_3 Depth=1
	s_or_b64 exec, exec, s[0:1]
	v_mul_lo_u32 v7, v11, s12
	v_mul_lo_u32 v15, v10, s13
	v_mad_u64_u32 v[13:14], s[0:1], v10, s12, 0
	s_load_dwordx2 s[0:1], s[6:7], 0xc8
	s_add_i32 s21, s21, -1
	v_add3_u32 v7, v14, v15, v7
	v_sub_co_u32_e32 v8, vcc, v8, v13
	v_subb_co_u32_e32 v7, vcc, v9, v7, vcc
	s_waitcnt lgkmcnt(0)
	v_mul_lo_u32 v7, s0, v7
	v_mul_lo_u32 v9, s1, v8
	v_mad_u64_u32 v[4:5], s[0:1], s0, v8, v[4:5]
	s_add_u32 s6, s6, -8
	s_addc_u32 s7, s7, -1
	s_cmp_gt_u32 s21, 2
	v_add3_u32 v5, v9, v5, v7
	s_cbranch_scc0 .LBB3_10
; %bb.8:                                ;   in Loop: Header=BB3_3 Depth=1
	v_mov_b32_e32 v8, v10
	v_mov_b32_e32 v9, v11
	s_branch .LBB3_3
.LBB3_9:
	v_mov_b32_e32 v11, v1
	v_mov_b32_e32 v10, v0
.LBB3_10:
	s_load_dwordx2 s[6:7], s[4:5], 0x1a8
	s_load_dword s1, s[2:3], 0xd0
	s_load_dwordx2 s[12:13], s[2:3], 0x0
	v_add_u32_e32 v8, 1, v2
	s_ashr_i32 s0, s20, 31
	s_waitcnt lgkmcnt(0)
	v_mad_u64_u32 v[4:5], s[2:3], s1, v10, v[4:5]
	v_mov_b32_e32 v5, 0
	v_mov_b32_e32 v7, s13
	;; [unrolled: 1-line block ×3, first 2 shown]
	v_ashrrev_i64 v[4:5], 29, v[5:6]
	s_load_dwordx2 s[2:3], s[4:5], 0x0
	v_add_co_u32_e32 v4, vcc, s12, v4
	v_addc_co_u32_e32 v5, vcc, v7, v5, vcc
	global_load_dwordx2 v[4:5], v[4:5], off
	v_lshlrev_b64 v[6:7], 2, v[0:1]
	s_waitcnt lgkmcnt(0)
	v_mov_b32_e32 v0, s3
	v_add_co_u32_e32 v6, vcc, s2, v6
	v_addc_co_u32_e32 v7, vcc, v0, v7, vcc
	global_load_dword v6, v[6:7], off
	v_mul_lo_u32 v7, v2, s8
	v_mul_lo_u32 v0, v3, s11
	v_xor_b32_e32 v3, s0, v1
	s_mul_i32 s2, s10, s9
	v_sub_u32_e32 v7, v12, v7
	v_cmp_le_u32_e32 vcc, s8, v7
	v_sub_u32_e32 v0, v12, v0
	v_cndmask_b32_e32 v2, v2, v8, vcc
	v_subrev_u32_e32 v8, s8, v7
	v_subrev_u32_e32 v9, s11, v0
	v_cmp_le_u32_e64 s[0:1], s11, v0
	v_cndmask_b32_e32 v7, v7, v8, vcc
	v_cndmask_b32_e64 v0, v0, v9, s[0:1]
	v_add_u32_e32 v8, 1, v2
	v_cmp_le_u32_e32 vcc, s8, v7
	v_subrev_u32_e32 v9, s11, v0
	v_cndmask_b32_e32 v2, v2, v8, vcc
	v_cmp_le_u32_e32 vcc, s11, v0
	v_cndmask_b32_e32 v0, v0, v9, vcc
	v_xor_b32_e32 v2, v2, v3
	v_xor_b32_e32 v7, v0, v1
	v_sub_u32_e32 v0, v2, v3
	v_mul_lo_u32 v0, s2, v0
	s_ashr_i32 s3, s9, 31
	v_sub_u32_e32 v1, v7, v1
	v_ashrrev_i32_e32 v2, 31, v1
	v_lshlrev_b64 v[2:3], 2, v[1:2]
	v_ashrrev_i32_e32 v1, 31, v0
	v_lshlrev_b64 v[0:1], 2, v[0:1]
	v_mov_b32_e32 v10, s7
	v_add_co_u32_e32 v9, vcc, s6, v0
	v_addc_co_u32_e32 v10, vcc, v10, v1, vcc
	s_waitcnt vmcnt(1)
	v_mul_lo_u32 v7, v4, s3
	v_mul_lo_u32 v8, v5, s9
	v_mad_u64_u32 v[4:5], s[0:1], v4, s9, 0
	v_add3_u32 v5, v5, v7, v8
	v_lshlrev_b64 v[0:1], 2, v[4:5]
	v_add_co_u32_e32 v0, vcc, v9, v0
	v_addc_co_u32_e32 v1, vcc, v10, v1, vcc
	v_add_co_u32_e32 v0, vcc, v0, v2
	v_addc_co_u32_e32 v1, vcc, v1, v3, vcc
	s_waitcnt vmcnt(0)
	global_atomic_smin v[0:1], v6, off
.LBB3_11:
	s_endpgm
	.section	.rodata,"a",@progbits
	.p2align	6, 0x0
	.amdhsa_kernel _Z14scatter_kernelIiL13ReductionType3EEvPKT_10TensorInfoIllEPS1_iiii
		.amdhsa_group_segment_fixed_size 0
		.amdhsa_private_segment_fixed_size 0
		.amdhsa_kernarg_size 704
		.amdhsa_user_sgpr_count 6
		.amdhsa_user_sgpr_private_segment_buffer 1
		.amdhsa_user_sgpr_dispatch_ptr 0
		.amdhsa_user_sgpr_queue_ptr 0
		.amdhsa_user_sgpr_kernarg_segment_ptr 1
		.amdhsa_user_sgpr_dispatch_id 0
		.amdhsa_user_sgpr_flat_scratch_init 0
		.amdhsa_user_sgpr_private_segment_size 0
		.amdhsa_uses_dynamic_stack 0
		.amdhsa_system_sgpr_private_segment_wavefront_offset 0
		.amdhsa_system_sgpr_workgroup_id_x 1
		.amdhsa_system_sgpr_workgroup_id_y 0
		.amdhsa_system_sgpr_workgroup_id_z 0
		.amdhsa_system_sgpr_workgroup_info 0
		.amdhsa_system_vgpr_workitem_id 0
		.amdhsa_next_free_vgpr 21
		.amdhsa_next_free_sgpr 29
		.amdhsa_reserve_vcc 1
		.amdhsa_reserve_flat_scratch 0
		.amdhsa_float_round_mode_32 0
		.amdhsa_float_round_mode_16_64 0
		.amdhsa_float_denorm_mode_32 3
		.amdhsa_float_denorm_mode_16_64 3
		.amdhsa_dx10_clamp 1
		.amdhsa_ieee_mode 1
		.amdhsa_fp16_overflow 0
		.amdhsa_exception_fp_ieee_invalid_op 0
		.amdhsa_exception_fp_denorm_src 0
		.amdhsa_exception_fp_ieee_div_zero 0
		.amdhsa_exception_fp_ieee_overflow 0
		.amdhsa_exception_fp_ieee_underflow 0
		.amdhsa_exception_fp_ieee_inexact 0
		.amdhsa_exception_int_div_zero 0
	.end_amdhsa_kernel
	.section	.text._Z14scatter_kernelIiL13ReductionType3EEvPKT_10TensorInfoIllEPS1_iiii,"axG",@progbits,_Z14scatter_kernelIiL13ReductionType3EEvPKT_10TensorInfoIllEPS1_iiii,comdat
.Lfunc_end3:
	.size	_Z14scatter_kernelIiL13ReductionType3EEvPKT_10TensorInfoIllEPS1_iiii, .Lfunc_end3-_Z14scatter_kernelIiL13ReductionType3EEvPKT_10TensorInfoIllEPS1_iiii
                                        ; -- End function
	.set _Z14scatter_kernelIiL13ReductionType3EEvPKT_10TensorInfoIllEPS1_iiii.num_vgpr, 21
	.set _Z14scatter_kernelIiL13ReductionType3EEvPKT_10TensorInfoIllEPS1_iiii.num_agpr, 0
	.set _Z14scatter_kernelIiL13ReductionType3EEvPKT_10TensorInfoIllEPS1_iiii.numbered_sgpr, 29
	.set _Z14scatter_kernelIiL13ReductionType3EEvPKT_10TensorInfoIllEPS1_iiii.num_named_barrier, 0
	.set _Z14scatter_kernelIiL13ReductionType3EEvPKT_10TensorInfoIllEPS1_iiii.private_seg_size, 0
	.set _Z14scatter_kernelIiL13ReductionType3EEvPKT_10TensorInfoIllEPS1_iiii.uses_vcc, 1
	.set _Z14scatter_kernelIiL13ReductionType3EEvPKT_10TensorInfoIllEPS1_iiii.uses_flat_scratch, 0
	.set _Z14scatter_kernelIiL13ReductionType3EEvPKT_10TensorInfoIllEPS1_iiii.has_dyn_sized_stack, 0
	.set _Z14scatter_kernelIiL13ReductionType3EEvPKT_10TensorInfoIllEPS1_iiii.has_recursion, 0
	.set _Z14scatter_kernelIiL13ReductionType3EEvPKT_10TensorInfoIllEPS1_iiii.has_indirect_call, 0
	.section	.AMDGPU.csdata,"",@progbits
; Kernel info:
; codeLenInByte = 1488
; TotalNumSgprs: 33
; NumVgprs: 21
; ScratchSize: 0
; MemoryBound: 0
; FloatMode: 240
; IeeeMode: 1
; LDSByteSize: 0 bytes/workgroup (compile time only)
; SGPRBlocks: 4
; VGPRBlocks: 5
; NumSGPRsForWavesPerEU: 33
; NumVGPRsForWavesPerEU: 21
; Occupancy: 10
; WaveLimiterHint : 1
; COMPUTE_PGM_RSRC2:SCRATCH_EN: 0
; COMPUTE_PGM_RSRC2:USER_SGPR: 6
; COMPUTE_PGM_RSRC2:TRAP_HANDLER: 0
; COMPUTE_PGM_RSRC2:TGID_X_EN: 1
; COMPUTE_PGM_RSRC2:TGID_Y_EN: 0
; COMPUTE_PGM_RSRC2:TGID_Z_EN: 0
; COMPUTE_PGM_RSRC2:TIDIG_COMP_CNT: 0
	.section	.text._Z14scatter_kernelIiL13ReductionType4EEvPKT_10TensorInfoIllEPS1_iiii,"axG",@progbits,_Z14scatter_kernelIiL13ReductionType4EEvPKT_10TensorInfoIllEPS1_iiii,comdat
	.protected	_Z14scatter_kernelIiL13ReductionType4EEvPKT_10TensorInfoIllEPS1_iiii ; -- Begin function _Z14scatter_kernelIiL13ReductionType4EEvPKT_10TensorInfoIllEPS1_iiii
	.globl	_Z14scatter_kernelIiL13ReductionType4EEvPKT_10TensorInfoIllEPS1_iiii
	.p2align	8
	.type	_Z14scatter_kernelIiL13ReductionType4EEvPKT_10TensorInfoIllEPS1_iiii,@function
_Z14scatter_kernelIiL13ReductionType4EEvPKT_10TensorInfoIllEPS1_iiii: ; @_Z14scatter_kernelIiL13ReductionType4EEvPKT_10TensorInfoIllEPS1_iiii
; %bb.0:
	s_load_dword s0, s[4:5], 0x1cc
	s_load_dwordx4 s[8:11], s[4:5], 0x1b0
	s_waitcnt lgkmcnt(0)
	s_and_b32 s0, s0, 0xffff
	s_mul_i32 s6, s6, s0
	v_add_u32_e32 v0, s6, v0
	v_cmp_gt_i32_e32 vcc, s11, v0
	s_and_saveexec_b64 s[0:1], vcc
	s_cbranch_execz .LBB4_11
; %bb.1:
	s_add_u32 s2, s4, 8
	s_addc_u32 s3, s5, 0
	s_abs_i32 s11, s9
	s_mul_i32 s20, s9, s8
	v_cvt_f32_u32_e32 v1, s11
	s_abs_i32 s8, s20
	v_cvt_f32_u32_e32 v2, s8
	s_sub_i32 s0, 0, s11
	v_rcp_iflag_f32_e32 v1, v1
	v_sub_u32_e32 v5, 0, v0
	v_rcp_iflag_f32_e32 v2, v2
	v_max_i32_e32 v12, v0, v5
	v_mul_f32_e32 v1, 0x4f7ffffe, v1
	v_cvt_u32_f32_e32 v1, v1
	v_mul_f32_e32 v2, 0x4f7ffffe, v2
	v_cvt_u32_f32_e32 v4, v2
	s_mov_b32 s1, 0
	v_mul_lo_u32 v2, s0, v1
	s_sub_i32 s0, 0, s8
	v_mul_lo_u32 v3, s0, v4
	s_load_dword s0, s[4:5], 0x1a0
	v_mul_hi_u32 v2, v1, v2
	v_mul_hi_u32 v5, v4, v3
	v_add_u32_e32 v1, v1, v2
	v_mad_u64_u32 v[2:3], s[6:7], v12, v1, 0
	v_add_u32_e32 v1, v4, v5
	v_mad_u64_u32 v[1:2], s[6:7], v12, v1, 0
	v_mov_b32_e32 v4, 0
	s_waitcnt lgkmcnt(0)
	s_cmp_lt_i32 s0, 2
	v_ashrrev_i32_e32 v1, 31, v0
	v_mov_b32_e32 v5, 0
	s_cbranch_scc1 .LBB4_9
; %bb.2:
	s_add_i32 s21, s0, 1
	s_add_i32 s0, s0, -1
	s_lshl_b64 s[0:1], s[0:1], 3
	s_add_u32 s0, s2, s0
	s_addc_u32 s1, s3, s1
	s_add_u32 s6, s0, 8
	v_mov_b32_e32 v4, 0
	v_mov_b32_e32 v9, v1
	s_addc_u32 s7, s1, 0
	v_mov_b32_e32 v5, 0
	v_mov_b32_e32 v6, 0
	;; [unrolled: 1-line block ×3, first 2 shown]
.LBB4_3:                                ; =>This Inner Loop Header: Depth=1
	s_load_dwordx2 s[12:13], s[6:7], 0x0
                                        ; implicit-def: $vgpr10_vgpr11
	s_waitcnt lgkmcnt(0)
	v_or_b32_e32 v7, s13, v9
	v_cmp_ne_u64_e32 vcc, 0, v[6:7]
	s_and_saveexec_b64 s[0:1], vcc
	s_xor_b64 s[14:15], exec, s[0:1]
	s_cbranch_execz .LBB4_5
; %bb.4:                                ;   in Loop: Header=BB4_3 Depth=1
	s_ashr_i32 s16, s13, 31
	s_add_u32 s0, s12, s16
	s_mov_b32 s17, s16
	s_addc_u32 s1, s13, s16
	s_xor_b64 s[18:19], s[0:1], s[16:17]
	v_cvt_f32_u32_e32 v7, s18
	v_cvt_f32_u32_e32 v10, s19
	s_sub_u32 s17, 0, s18
	s_subb_u32 s22, 0, s19
	v_mac_f32_e32 v7, 0x4f800000, v10
	v_rcp_f32_e32 v7, v7
	v_mul_f32_e32 v7, 0x5f7ffffc, v7
	v_mul_f32_e32 v10, 0x2f800000, v7
	v_trunc_f32_e32 v10, v10
	v_mac_f32_e32 v7, 0xcf800000, v10
	v_cvt_u32_f32_e32 v10, v10
	v_cvt_u32_f32_e32 v7, v7
	v_readfirstlane_b32 s23, v10
	v_readfirstlane_b32 s0, v7
	s_mul_i32 s1, s17, s23
	s_mul_hi_u32 s25, s17, s0
	s_mul_i32 s24, s22, s0
	s_add_i32 s1, s25, s1
	s_add_i32 s1, s1, s24
	s_mul_i32 s26, s17, s0
	s_mul_i32 s25, s0, s1
	s_mul_hi_u32 s27, s0, s26
	s_mul_hi_u32 s24, s0, s1
	s_add_u32 s25, s27, s25
	s_addc_u32 s24, 0, s24
	s_mul_hi_u32 s28, s23, s26
	s_mul_i32 s26, s23, s26
	s_add_u32 s25, s25, s26
	s_mul_hi_u32 s27, s23, s1
	s_addc_u32 s24, s24, s28
	s_addc_u32 s25, s27, 0
	s_mul_i32 s1, s23, s1
	s_add_u32 s1, s24, s1
	s_addc_u32 s24, 0, s25
	s_add_u32 s25, s0, s1
	s_cselect_b64 s[0:1], -1, 0
	s_cmp_lg_u64 s[0:1], 0
	s_addc_u32 s23, s23, s24
	s_mul_i32 s0, s17, s23
	s_mul_hi_u32 s1, s17, s25
	s_add_i32 s0, s1, s0
	s_mul_i32 s22, s22, s25
	s_add_i32 s0, s0, s22
	s_mul_i32 s17, s17, s25
	s_mul_hi_u32 s22, s23, s17
	s_mul_i32 s24, s23, s17
	s_mul_i32 s27, s25, s0
	s_mul_hi_u32 s17, s25, s17
	s_mul_hi_u32 s26, s25, s0
	s_add_u32 s17, s17, s27
	s_addc_u32 s26, 0, s26
	s_add_u32 s17, s17, s24
	s_mul_hi_u32 s1, s23, s0
	s_addc_u32 s17, s26, s22
	s_addc_u32 s1, s1, 0
	s_mul_i32 s0, s23, s0
	s_add_u32 s0, s17, s0
	s_addc_u32 s17, 0, s1
	s_add_u32 s22, s25, s0
	s_cselect_b64 s[0:1], -1, 0
	v_ashrrev_i32_e32 v7, 31, v9
	s_cmp_lg_u64 s[0:1], 0
	v_add_co_u32_e32 v10, vcc, v8, v7
	s_addc_u32 s17, s23, s17
	v_xor_b32_e32 v15, v10, v7
	v_mad_u64_u32 v[10:11], s[0:1], v15, s17, 0
	v_mul_hi_u32 v14, v15, s22
	v_addc_co_u32_e32 v13, vcc, v9, v7, vcc
	v_xor_b32_e32 v16, v13, v7
	v_add_co_u32_e32 v17, vcc, v14, v10
	v_addc_co_u32_e32 v18, vcc, 0, v11, vcc
	v_mad_u64_u32 v[10:11], s[0:1], v16, s22, 0
	v_mad_u64_u32 v[13:14], s[0:1], v16, s17, 0
	v_add_co_u32_e32 v10, vcc, v17, v10
	v_addc_co_u32_e32 v10, vcc, v18, v11, vcc
	v_addc_co_u32_e32 v11, vcc, 0, v14, vcc
	v_add_co_u32_e32 v13, vcc, v10, v13
	v_addc_co_u32_e32 v14, vcc, 0, v11, vcc
	v_mul_lo_u32 v17, s19, v13
	v_mul_lo_u32 v18, s18, v14
	v_mad_u64_u32 v[10:11], s[0:1], s18, v13, 0
	v_xor_b32_e32 v7, s16, v7
	v_add3_u32 v11, v11, v18, v17
	v_sub_u32_e32 v17, v16, v11
	v_mov_b32_e32 v18, s19
	v_sub_co_u32_e32 v10, vcc, v15, v10
	v_subb_co_u32_e64 v15, s[0:1], v17, v18, vcc
	v_subrev_co_u32_e64 v17, s[0:1], s18, v10
	v_subbrev_co_u32_e64 v15, s[0:1], 0, v15, s[0:1]
	v_cmp_le_u32_e64 s[0:1], s19, v15
	v_cndmask_b32_e64 v18, 0, -1, s[0:1]
	v_cmp_le_u32_e64 s[0:1], s18, v17
	v_cndmask_b32_e64 v17, 0, -1, s[0:1]
	v_cmp_eq_u32_e64 s[0:1], s19, v15
	v_cndmask_b32_e64 v15, v18, v17, s[0:1]
	v_add_co_u32_e64 v17, s[0:1], 2, v13
	v_subb_co_u32_e32 v11, vcc, v16, v11, vcc
	v_addc_co_u32_e64 v18, s[0:1], 0, v14, s[0:1]
	v_cmp_le_u32_e32 vcc, s19, v11
	v_add_co_u32_e64 v19, s[0:1], 1, v13
	v_cndmask_b32_e64 v16, 0, -1, vcc
	v_cmp_le_u32_e32 vcc, s18, v10
	v_addc_co_u32_e64 v20, s[0:1], 0, v14, s[0:1]
	v_cndmask_b32_e64 v10, 0, -1, vcc
	v_cmp_eq_u32_e32 vcc, s19, v11
	v_cmp_ne_u32_e64 s[0:1], 0, v15
	v_cndmask_b32_e32 v10, v16, v10, vcc
	v_cndmask_b32_e64 v15, v20, v18, s[0:1]
	v_cmp_ne_u32_e32 vcc, 0, v10
	v_cndmask_b32_e64 v11, v19, v17, s[0:1]
	v_cndmask_b32_e32 v10, v14, v15, vcc
	v_cndmask_b32_e32 v11, v13, v11, vcc
	v_xor_b32_e32 v13, v10, v7
	v_xor_b32_e32 v10, v11, v7
	v_sub_co_u32_e32 v10, vcc, v10, v7
	v_subb_co_u32_e32 v11, vcc, v13, v7, vcc
.LBB4_5:                                ;   in Loop: Header=BB4_3 Depth=1
	s_andn2_saveexec_b64 s[0:1], s[14:15]
	s_cbranch_execz .LBB4_7
; %bb.6:                                ;   in Loop: Header=BB4_3 Depth=1
	v_cvt_f32_u32_e32 v7, s12
	s_sub_i32 s14, 0, s12
	v_rcp_iflag_f32_e32 v7, v7
	v_mul_f32_e32 v7, 0x4f7ffffe, v7
	v_cvt_u32_f32_e32 v7, v7
	v_mul_lo_u32 v10, s14, v7
	v_mul_hi_u32 v10, v7, v10
	v_add_u32_e32 v7, v7, v10
	v_mul_hi_u32 v7, v8, v7
	v_mul_lo_u32 v10, v7, s12
	v_add_u32_e32 v11, 1, v7
	v_sub_u32_e32 v10, v8, v10
	v_subrev_u32_e32 v13, s12, v10
	v_cmp_le_u32_e32 vcc, s12, v10
	v_cndmask_b32_e32 v10, v10, v13, vcc
	v_cndmask_b32_e32 v7, v7, v11, vcc
	v_add_u32_e32 v11, 1, v7
	v_cmp_le_u32_e32 vcc, s12, v10
	v_cndmask_b32_e32 v10, v7, v11, vcc
	v_mov_b32_e32 v11, v6
.LBB4_7:                                ;   in Loop: Header=BB4_3 Depth=1
	s_or_b64 exec, exec, s[0:1]
	v_mul_lo_u32 v7, v11, s12
	v_mul_lo_u32 v15, v10, s13
	v_mad_u64_u32 v[13:14], s[0:1], v10, s12, 0
	s_load_dwordx2 s[0:1], s[6:7], 0xc8
	s_add_i32 s21, s21, -1
	v_add3_u32 v7, v14, v15, v7
	v_sub_co_u32_e32 v8, vcc, v8, v13
	v_subb_co_u32_e32 v7, vcc, v9, v7, vcc
	s_waitcnt lgkmcnt(0)
	v_mul_lo_u32 v7, s0, v7
	v_mul_lo_u32 v9, s1, v8
	v_mad_u64_u32 v[4:5], s[0:1], s0, v8, v[4:5]
	s_add_u32 s6, s6, -8
	s_addc_u32 s7, s7, -1
	s_cmp_gt_u32 s21, 2
	v_add3_u32 v5, v9, v5, v7
	s_cbranch_scc0 .LBB4_10
; %bb.8:                                ;   in Loop: Header=BB4_3 Depth=1
	v_mov_b32_e32 v8, v10
	v_mov_b32_e32 v9, v11
	s_branch .LBB4_3
.LBB4_9:
	v_mov_b32_e32 v11, v1
	v_mov_b32_e32 v10, v0
.LBB4_10:
	s_load_dwordx2 s[6:7], s[4:5], 0x1a8
	s_load_dword s1, s[2:3], 0xd0
	s_load_dwordx2 s[12:13], s[2:3], 0x0
	v_add_u32_e32 v8, 1, v2
	s_ashr_i32 s0, s20, 31
	s_waitcnt lgkmcnt(0)
	v_mad_u64_u32 v[4:5], s[2:3], s1, v10, v[4:5]
	v_mov_b32_e32 v5, 0
	v_mov_b32_e32 v7, s13
	;; [unrolled: 1-line block ×3, first 2 shown]
	v_ashrrev_i64 v[4:5], 29, v[5:6]
	s_load_dwordx2 s[2:3], s[4:5], 0x0
	v_add_co_u32_e32 v4, vcc, s12, v4
	v_addc_co_u32_e32 v5, vcc, v7, v5, vcc
	global_load_dwordx2 v[4:5], v[4:5], off
	v_lshlrev_b64 v[6:7], 2, v[0:1]
	s_waitcnt lgkmcnt(0)
	v_mov_b32_e32 v0, s3
	v_add_co_u32_e32 v6, vcc, s2, v6
	v_addc_co_u32_e32 v7, vcc, v0, v7, vcc
	global_load_dword v6, v[6:7], off
	v_mul_lo_u32 v7, v2, s8
	v_mul_lo_u32 v0, v3, s11
	v_xor_b32_e32 v3, s0, v1
	s_mul_i32 s2, s10, s9
	v_sub_u32_e32 v7, v12, v7
	v_cmp_le_u32_e32 vcc, s8, v7
	v_sub_u32_e32 v0, v12, v0
	v_cndmask_b32_e32 v2, v2, v8, vcc
	v_subrev_u32_e32 v8, s8, v7
	v_subrev_u32_e32 v9, s11, v0
	v_cmp_le_u32_e64 s[0:1], s11, v0
	v_cndmask_b32_e32 v7, v7, v8, vcc
	v_cndmask_b32_e64 v0, v0, v9, s[0:1]
	v_add_u32_e32 v8, 1, v2
	v_cmp_le_u32_e32 vcc, s8, v7
	v_subrev_u32_e32 v9, s11, v0
	v_cndmask_b32_e32 v2, v2, v8, vcc
	v_cmp_le_u32_e32 vcc, s11, v0
	v_cndmask_b32_e32 v0, v0, v9, vcc
	v_xor_b32_e32 v2, v2, v3
	v_xor_b32_e32 v7, v0, v1
	v_sub_u32_e32 v0, v2, v3
	v_mul_lo_u32 v0, s2, v0
	s_ashr_i32 s3, s9, 31
	v_sub_u32_e32 v1, v7, v1
	v_ashrrev_i32_e32 v2, 31, v1
	v_lshlrev_b64 v[2:3], 2, v[1:2]
	v_ashrrev_i32_e32 v1, 31, v0
	v_lshlrev_b64 v[0:1], 2, v[0:1]
	v_mov_b32_e32 v10, s7
	v_add_co_u32_e32 v9, vcc, s6, v0
	v_addc_co_u32_e32 v10, vcc, v10, v1, vcc
	s_waitcnt vmcnt(1)
	v_mul_lo_u32 v7, v4, s3
	v_mul_lo_u32 v8, v5, s9
	v_mad_u64_u32 v[4:5], s[0:1], v4, s9, 0
	v_add3_u32 v5, v5, v7, v8
	v_lshlrev_b64 v[0:1], 2, v[4:5]
	v_add_co_u32_e32 v0, vcc, v9, v0
	v_addc_co_u32_e32 v1, vcc, v10, v1, vcc
	v_add_co_u32_e32 v0, vcc, v0, v2
	v_addc_co_u32_e32 v1, vcc, v1, v3, vcc
	s_waitcnt vmcnt(0)
	global_atomic_smax v[0:1], v6, off
.LBB4_11:
	s_endpgm
	.section	.rodata,"a",@progbits
	.p2align	6, 0x0
	.amdhsa_kernel _Z14scatter_kernelIiL13ReductionType4EEvPKT_10TensorInfoIllEPS1_iiii
		.amdhsa_group_segment_fixed_size 0
		.amdhsa_private_segment_fixed_size 0
		.amdhsa_kernarg_size 704
		.amdhsa_user_sgpr_count 6
		.amdhsa_user_sgpr_private_segment_buffer 1
		.amdhsa_user_sgpr_dispatch_ptr 0
		.amdhsa_user_sgpr_queue_ptr 0
		.amdhsa_user_sgpr_kernarg_segment_ptr 1
		.amdhsa_user_sgpr_dispatch_id 0
		.amdhsa_user_sgpr_flat_scratch_init 0
		.amdhsa_user_sgpr_private_segment_size 0
		.amdhsa_uses_dynamic_stack 0
		.amdhsa_system_sgpr_private_segment_wavefront_offset 0
		.amdhsa_system_sgpr_workgroup_id_x 1
		.amdhsa_system_sgpr_workgroup_id_y 0
		.amdhsa_system_sgpr_workgroup_id_z 0
		.amdhsa_system_sgpr_workgroup_info 0
		.amdhsa_system_vgpr_workitem_id 0
		.amdhsa_next_free_vgpr 21
		.amdhsa_next_free_sgpr 29
		.amdhsa_reserve_vcc 1
		.amdhsa_reserve_flat_scratch 0
		.amdhsa_float_round_mode_32 0
		.amdhsa_float_round_mode_16_64 0
		.amdhsa_float_denorm_mode_32 3
		.amdhsa_float_denorm_mode_16_64 3
		.amdhsa_dx10_clamp 1
		.amdhsa_ieee_mode 1
		.amdhsa_fp16_overflow 0
		.amdhsa_exception_fp_ieee_invalid_op 0
		.amdhsa_exception_fp_denorm_src 0
		.amdhsa_exception_fp_ieee_div_zero 0
		.amdhsa_exception_fp_ieee_overflow 0
		.amdhsa_exception_fp_ieee_underflow 0
		.amdhsa_exception_fp_ieee_inexact 0
		.amdhsa_exception_int_div_zero 0
	.end_amdhsa_kernel
	.section	.text._Z14scatter_kernelIiL13ReductionType4EEvPKT_10TensorInfoIllEPS1_iiii,"axG",@progbits,_Z14scatter_kernelIiL13ReductionType4EEvPKT_10TensorInfoIllEPS1_iiii,comdat
.Lfunc_end4:
	.size	_Z14scatter_kernelIiL13ReductionType4EEvPKT_10TensorInfoIllEPS1_iiii, .Lfunc_end4-_Z14scatter_kernelIiL13ReductionType4EEvPKT_10TensorInfoIllEPS1_iiii
                                        ; -- End function
	.set _Z14scatter_kernelIiL13ReductionType4EEvPKT_10TensorInfoIllEPS1_iiii.num_vgpr, 21
	.set _Z14scatter_kernelIiL13ReductionType4EEvPKT_10TensorInfoIllEPS1_iiii.num_agpr, 0
	.set _Z14scatter_kernelIiL13ReductionType4EEvPKT_10TensorInfoIllEPS1_iiii.numbered_sgpr, 29
	.set _Z14scatter_kernelIiL13ReductionType4EEvPKT_10TensorInfoIllEPS1_iiii.num_named_barrier, 0
	.set _Z14scatter_kernelIiL13ReductionType4EEvPKT_10TensorInfoIllEPS1_iiii.private_seg_size, 0
	.set _Z14scatter_kernelIiL13ReductionType4EEvPKT_10TensorInfoIllEPS1_iiii.uses_vcc, 1
	.set _Z14scatter_kernelIiL13ReductionType4EEvPKT_10TensorInfoIllEPS1_iiii.uses_flat_scratch, 0
	.set _Z14scatter_kernelIiL13ReductionType4EEvPKT_10TensorInfoIllEPS1_iiii.has_dyn_sized_stack, 0
	.set _Z14scatter_kernelIiL13ReductionType4EEvPKT_10TensorInfoIllEPS1_iiii.has_recursion, 0
	.set _Z14scatter_kernelIiL13ReductionType4EEvPKT_10TensorInfoIllEPS1_iiii.has_indirect_call, 0
	.section	.AMDGPU.csdata,"",@progbits
; Kernel info:
; codeLenInByte = 1488
; TotalNumSgprs: 33
; NumVgprs: 21
; ScratchSize: 0
; MemoryBound: 0
; FloatMode: 240
; IeeeMode: 1
; LDSByteSize: 0 bytes/workgroup (compile time only)
; SGPRBlocks: 4
; VGPRBlocks: 5
; NumSGPRsForWavesPerEU: 33
; NumVGPRsForWavesPerEU: 21
; Occupancy: 10
; WaveLimiterHint : 1
; COMPUTE_PGM_RSRC2:SCRATCH_EN: 0
; COMPUTE_PGM_RSRC2:USER_SGPR: 6
; COMPUTE_PGM_RSRC2:TRAP_HANDLER: 0
; COMPUTE_PGM_RSRC2:TGID_X_EN: 1
; COMPUTE_PGM_RSRC2:TGID_Y_EN: 0
; COMPUTE_PGM_RSRC2:TGID_Z_EN: 0
; COMPUTE_PGM_RSRC2:TIDIG_COMP_CNT: 0
	.section	.text._Z14scatter_kernelIlL13ReductionType1EEvPKT_10TensorInfoIllEPS1_iiii,"axG",@progbits,_Z14scatter_kernelIlL13ReductionType1EEvPKT_10TensorInfoIllEPS1_iiii,comdat
	.protected	_Z14scatter_kernelIlL13ReductionType1EEvPKT_10TensorInfoIllEPS1_iiii ; -- Begin function _Z14scatter_kernelIlL13ReductionType1EEvPKT_10TensorInfoIllEPS1_iiii
	.globl	_Z14scatter_kernelIlL13ReductionType1EEvPKT_10TensorInfoIllEPS1_iiii
	.p2align	8
	.type	_Z14scatter_kernelIlL13ReductionType1EEvPKT_10TensorInfoIllEPS1_iiii,@function
_Z14scatter_kernelIlL13ReductionType1EEvPKT_10TensorInfoIllEPS1_iiii: ; @_Z14scatter_kernelIlL13ReductionType1EEvPKT_10TensorInfoIllEPS1_iiii
; %bb.0:
	s_load_dword s0, s[4:5], 0x1cc
	s_load_dwordx4 s[8:11], s[4:5], 0x1b0
	s_waitcnt lgkmcnt(0)
	s_and_b32 s0, s0, 0xffff
	s_mul_i32 s6, s6, s0
	v_add_u32_e32 v0, s6, v0
	v_cmp_gt_i32_e32 vcc, s11, v0
	s_and_saveexec_b64 s[0:1], vcc
	s_cbranch_execz .LBB5_12
; %bb.1:
	s_add_u32 s2, s4, 8
	s_addc_u32 s3, s5, 0
	s_abs_i32 s11, s9
	s_mul_i32 s20, s9, s8
	v_cvt_f32_u32_e32 v1, s11
	s_abs_i32 s8, s20
	v_cvt_f32_u32_e32 v2, s8
	s_sub_i32 s0, 0, s11
	v_rcp_iflag_f32_e32 v1, v1
	v_sub_u32_e32 v5, 0, v0
	v_rcp_iflag_f32_e32 v2, v2
	v_max_i32_e32 v12, v0, v5
	v_mul_f32_e32 v1, 0x4f7ffffe, v1
	v_cvt_u32_f32_e32 v1, v1
	v_mul_f32_e32 v2, 0x4f7ffffe, v2
	v_cvt_u32_f32_e32 v4, v2
	s_mov_b32 s1, 0
	v_mul_lo_u32 v2, s0, v1
	s_sub_i32 s0, 0, s8
	v_mul_lo_u32 v3, s0, v4
	s_load_dword s0, s[4:5], 0x1a0
	v_mul_hi_u32 v2, v1, v2
	v_mul_hi_u32 v5, v4, v3
	v_add_u32_e32 v1, v1, v2
	v_mad_u64_u32 v[2:3], s[6:7], v12, v1, 0
	v_add_u32_e32 v1, v4, v5
	v_mad_u64_u32 v[1:2], s[6:7], v12, v1, 0
	v_mov_b32_e32 v4, 0
	s_waitcnt lgkmcnt(0)
	s_cmp_lt_i32 s0, 2
	v_ashrrev_i32_e32 v1, 31, v0
	v_mov_b32_e32 v5, 0
	s_cbranch_scc1 .LBB5_9
; %bb.2:
	s_add_i32 s21, s0, 1
	s_add_i32 s0, s0, -1
	s_lshl_b64 s[0:1], s[0:1], 3
	s_add_u32 s0, s2, s0
	s_addc_u32 s1, s3, s1
	s_add_u32 s6, s0, 8
	v_mov_b32_e32 v4, 0
	v_mov_b32_e32 v9, v1
	s_addc_u32 s7, s1, 0
	v_mov_b32_e32 v5, 0
	v_mov_b32_e32 v6, 0
	v_mov_b32_e32 v8, v0
.LBB5_3:                                ; =>This Inner Loop Header: Depth=1
	s_load_dwordx2 s[12:13], s[6:7], 0x0
                                        ; implicit-def: $vgpr10_vgpr11
	s_waitcnt lgkmcnt(0)
	v_or_b32_e32 v7, s13, v9
	v_cmp_ne_u64_e32 vcc, 0, v[6:7]
	s_and_saveexec_b64 s[0:1], vcc
	s_xor_b64 s[14:15], exec, s[0:1]
	s_cbranch_execz .LBB5_5
; %bb.4:                                ;   in Loop: Header=BB5_3 Depth=1
	s_ashr_i32 s16, s13, 31
	s_add_u32 s0, s12, s16
	s_mov_b32 s17, s16
	s_addc_u32 s1, s13, s16
	s_xor_b64 s[18:19], s[0:1], s[16:17]
	v_cvt_f32_u32_e32 v7, s18
	v_cvt_f32_u32_e32 v10, s19
	s_sub_u32 s17, 0, s18
	s_subb_u32 s22, 0, s19
	v_mac_f32_e32 v7, 0x4f800000, v10
	v_rcp_f32_e32 v7, v7
	v_mul_f32_e32 v7, 0x5f7ffffc, v7
	v_mul_f32_e32 v10, 0x2f800000, v7
	v_trunc_f32_e32 v10, v10
	v_mac_f32_e32 v7, 0xcf800000, v10
	v_cvt_u32_f32_e32 v10, v10
	v_cvt_u32_f32_e32 v7, v7
	v_readfirstlane_b32 s23, v10
	v_readfirstlane_b32 s0, v7
	s_mul_i32 s1, s17, s23
	s_mul_hi_u32 s25, s17, s0
	s_mul_i32 s24, s22, s0
	s_add_i32 s1, s25, s1
	s_add_i32 s1, s1, s24
	s_mul_i32 s26, s17, s0
	s_mul_i32 s25, s0, s1
	s_mul_hi_u32 s27, s0, s26
	s_mul_hi_u32 s24, s0, s1
	s_add_u32 s25, s27, s25
	s_addc_u32 s24, 0, s24
	s_mul_hi_u32 s28, s23, s26
	s_mul_i32 s26, s23, s26
	s_add_u32 s25, s25, s26
	s_mul_hi_u32 s27, s23, s1
	s_addc_u32 s24, s24, s28
	s_addc_u32 s25, s27, 0
	s_mul_i32 s1, s23, s1
	s_add_u32 s1, s24, s1
	s_addc_u32 s24, 0, s25
	s_add_u32 s25, s0, s1
	s_cselect_b64 s[0:1], -1, 0
	s_cmp_lg_u64 s[0:1], 0
	s_addc_u32 s23, s23, s24
	s_mul_i32 s0, s17, s23
	s_mul_hi_u32 s1, s17, s25
	s_add_i32 s0, s1, s0
	s_mul_i32 s22, s22, s25
	s_add_i32 s0, s0, s22
	s_mul_i32 s17, s17, s25
	s_mul_hi_u32 s22, s23, s17
	s_mul_i32 s24, s23, s17
	s_mul_i32 s27, s25, s0
	s_mul_hi_u32 s17, s25, s17
	s_mul_hi_u32 s26, s25, s0
	s_add_u32 s17, s17, s27
	s_addc_u32 s26, 0, s26
	s_add_u32 s17, s17, s24
	s_mul_hi_u32 s1, s23, s0
	s_addc_u32 s17, s26, s22
	s_addc_u32 s1, s1, 0
	s_mul_i32 s0, s23, s0
	s_add_u32 s0, s17, s0
	s_addc_u32 s17, 0, s1
	s_add_u32 s22, s25, s0
	s_cselect_b64 s[0:1], -1, 0
	v_ashrrev_i32_e32 v7, 31, v9
	s_cmp_lg_u64 s[0:1], 0
	v_add_co_u32_e32 v10, vcc, v8, v7
	s_addc_u32 s17, s23, s17
	v_xor_b32_e32 v15, v10, v7
	v_mad_u64_u32 v[10:11], s[0:1], v15, s17, 0
	v_mul_hi_u32 v14, v15, s22
	v_addc_co_u32_e32 v13, vcc, v9, v7, vcc
	v_xor_b32_e32 v16, v13, v7
	v_add_co_u32_e32 v17, vcc, v14, v10
	v_addc_co_u32_e32 v18, vcc, 0, v11, vcc
	v_mad_u64_u32 v[10:11], s[0:1], v16, s22, 0
	v_mad_u64_u32 v[13:14], s[0:1], v16, s17, 0
	v_add_co_u32_e32 v10, vcc, v17, v10
	v_addc_co_u32_e32 v10, vcc, v18, v11, vcc
	v_addc_co_u32_e32 v11, vcc, 0, v14, vcc
	v_add_co_u32_e32 v13, vcc, v10, v13
	v_addc_co_u32_e32 v14, vcc, 0, v11, vcc
	v_mul_lo_u32 v17, s19, v13
	v_mul_lo_u32 v18, s18, v14
	v_mad_u64_u32 v[10:11], s[0:1], s18, v13, 0
	v_xor_b32_e32 v7, s16, v7
	v_add3_u32 v11, v11, v18, v17
	v_sub_u32_e32 v17, v16, v11
	v_mov_b32_e32 v18, s19
	v_sub_co_u32_e32 v10, vcc, v15, v10
	v_subb_co_u32_e64 v15, s[0:1], v17, v18, vcc
	v_subrev_co_u32_e64 v17, s[0:1], s18, v10
	v_subbrev_co_u32_e64 v15, s[0:1], 0, v15, s[0:1]
	v_cmp_le_u32_e64 s[0:1], s19, v15
	v_cndmask_b32_e64 v18, 0, -1, s[0:1]
	v_cmp_le_u32_e64 s[0:1], s18, v17
	v_cndmask_b32_e64 v17, 0, -1, s[0:1]
	v_cmp_eq_u32_e64 s[0:1], s19, v15
	v_cndmask_b32_e64 v15, v18, v17, s[0:1]
	v_add_co_u32_e64 v17, s[0:1], 2, v13
	v_subb_co_u32_e32 v11, vcc, v16, v11, vcc
	v_addc_co_u32_e64 v18, s[0:1], 0, v14, s[0:1]
	v_cmp_le_u32_e32 vcc, s19, v11
	v_add_co_u32_e64 v19, s[0:1], 1, v13
	v_cndmask_b32_e64 v16, 0, -1, vcc
	v_cmp_le_u32_e32 vcc, s18, v10
	v_addc_co_u32_e64 v20, s[0:1], 0, v14, s[0:1]
	v_cndmask_b32_e64 v10, 0, -1, vcc
	v_cmp_eq_u32_e32 vcc, s19, v11
	v_cmp_ne_u32_e64 s[0:1], 0, v15
	v_cndmask_b32_e32 v10, v16, v10, vcc
	v_cndmask_b32_e64 v15, v20, v18, s[0:1]
	v_cmp_ne_u32_e32 vcc, 0, v10
	v_cndmask_b32_e64 v11, v19, v17, s[0:1]
	v_cndmask_b32_e32 v10, v14, v15, vcc
	v_cndmask_b32_e32 v11, v13, v11, vcc
	v_xor_b32_e32 v13, v10, v7
	v_xor_b32_e32 v10, v11, v7
	v_sub_co_u32_e32 v10, vcc, v10, v7
	v_subb_co_u32_e32 v11, vcc, v13, v7, vcc
.LBB5_5:                                ;   in Loop: Header=BB5_3 Depth=1
	s_andn2_saveexec_b64 s[0:1], s[14:15]
	s_cbranch_execz .LBB5_7
; %bb.6:                                ;   in Loop: Header=BB5_3 Depth=1
	v_cvt_f32_u32_e32 v7, s12
	s_sub_i32 s14, 0, s12
	v_rcp_iflag_f32_e32 v7, v7
	v_mul_f32_e32 v7, 0x4f7ffffe, v7
	v_cvt_u32_f32_e32 v7, v7
	v_mul_lo_u32 v10, s14, v7
	v_mul_hi_u32 v10, v7, v10
	v_add_u32_e32 v7, v7, v10
	v_mul_hi_u32 v7, v8, v7
	v_mul_lo_u32 v10, v7, s12
	v_add_u32_e32 v11, 1, v7
	v_sub_u32_e32 v10, v8, v10
	v_subrev_u32_e32 v13, s12, v10
	v_cmp_le_u32_e32 vcc, s12, v10
	v_cndmask_b32_e32 v10, v10, v13, vcc
	v_cndmask_b32_e32 v7, v7, v11, vcc
	v_add_u32_e32 v11, 1, v7
	v_cmp_le_u32_e32 vcc, s12, v10
	v_cndmask_b32_e32 v10, v7, v11, vcc
	v_mov_b32_e32 v11, v6
.LBB5_7:                                ;   in Loop: Header=BB5_3 Depth=1
	s_or_b64 exec, exec, s[0:1]
	v_mul_lo_u32 v7, v11, s12
	v_mul_lo_u32 v15, v10, s13
	v_mad_u64_u32 v[13:14], s[0:1], v10, s12, 0
	s_load_dwordx2 s[0:1], s[6:7], 0xc8
	s_add_i32 s21, s21, -1
	v_add3_u32 v7, v14, v15, v7
	v_sub_co_u32_e32 v8, vcc, v8, v13
	v_subb_co_u32_e32 v7, vcc, v9, v7, vcc
	s_waitcnt lgkmcnt(0)
	v_mul_lo_u32 v7, s0, v7
	v_mul_lo_u32 v9, s1, v8
	v_mad_u64_u32 v[4:5], s[0:1], s0, v8, v[4:5]
	s_add_u32 s6, s6, -8
	s_addc_u32 s7, s7, -1
	s_cmp_gt_u32 s21, 2
	v_add3_u32 v5, v9, v5, v7
	s_cbranch_scc0 .LBB5_10
; %bb.8:                                ;   in Loop: Header=BB5_3 Depth=1
	v_mov_b32_e32 v8, v10
	v_mov_b32_e32 v9, v11
	s_branch .LBB5_3
.LBB5_9:
	v_mov_b32_e32 v11, v1
	v_mov_b32_e32 v10, v0
.LBB5_10:
	s_load_dwordx2 s[6:7], s[4:5], 0x1a8
	s_load_dword s1, s[2:3], 0xd0
	s_load_dwordx2 s[12:13], s[2:3], 0x0
	v_mul_lo_u32 v3, v3, s11
	v_mul_lo_u32 v8, v2, s8
	s_ashr_i32 s0, s20, 31
	s_waitcnt lgkmcnt(0)
	v_mad_u64_u32 v[4:5], s[2:3], s1, v10, v[4:5]
	v_mov_b32_e32 v5, 0
	v_mov_b32_e32 v7, s13
	;; [unrolled: 1-line block ×3, first 2 shown]
	v_ashrrev_i64 v[4:5], 29, v[5:6]
	s_load_dwordx2 s[2:3], s[4:5], 0x0
	v_add_co_u32_e32 v4, vcc, s12, v4
	v_addc_co_u32_e32 v5, vcc, v7, v5, vcc
	global_load_dwordx2 v[4:5], v[4:5], off
	v_lshlrev_b64 v[6:7], 3, v[0:1]
	v_sub_u32_e32 v0, v12, v3
	v_sub_u32_e32 v3, v12, v8
	v_add_u32_e32 v9, 1, v2
	v_cmp_le_u32_e32 vcc, s8, v3
	v_xor_b32_e32 v10, s0, v1
	v_subrev_u32_e32 v8, s11, v0
	v_cndmask_b32_e32 v2, v2, v9, vcc
	v_subrev_u32_e32 v9, s8, v3
	v_cmp_le_u32_e64 s[0:1], s11, v0
	s_waitcnt lgkmcnt(0)
	v_mov_b32_e32 v12, s3
	v_cndmask_b32_e64 v0, v0, v8, s[0:1]
	v_cndmask_b32_e32 v3, v3, v9, vcc
	v_add_co_u32_e32 v8, vcc, s2, v6
	v_addc_co_u32_e32 v9, vcc, v12, v7, vcc
	v_add_u32_e32 v13, 1, v2
	v_cmp_le_u32_e32 vcc, s8, v3
	v_subrev_u32_e32 v6, s11, v0
	v_cndmask_b32_e32 v2, v2, v13, vcc
	v_cmp_le_u32_e32 vcc, s11, v0
	v_cndmask_b32_e32 v0, v0, v6, vcc
	v_xor_b32_e32 v2, v2, v10
	s_mul_i32 s4, s10, s9
	v_xor_b32_e32 v3, v0, v1
	v_sub_u32_e32 v0, v2, v10
	v_mul_lo_u32 v0, s4, v0
	s_ashr_i32 s5, s9, 31
	v_sub_u32_e32 v1, v3, v1
	v_ashrrev_i32_e32 v2, 31, v1
	v_lshlrev_b64 v[2:3], 3, v[1:2]
	v_ashrrev_i32_e32 v1, 31, v0
	v_lshlrev_b64 v[0:1], 3, v[0:1]
	v_mov_b32_e32 v11, s7
	v_add_co_u32_e32 v10, vcc, s6, v0
	v_addc_co_u32_e32 v11, vcc, v11, v1, vcc
	s_waitcnt vmcnt(0)
	v_mul_lo_u32 v6, v4, s5
	v_mul_lo_u32 v7, v5, s9
	v_mad_u64_u32 v[4:5], s[0:1], v4, s9, 0
	s_mov_b64 s[0:1], 0
	v_add3_u32 v5, v5, v6, v7
	v_lshlrev_b64 v[0:1], 3, v[4:5]
	v_add_co_u32_e32 v0, vcc, v10, v0
	v_addc_co_u32_e32 v1, vcc, v11, v1, vcc
	v_add_co_u32_e32 v4, vcc, v0, v2
	v_addc_co_u32_e32 v5, vcc, v1, v3, vcc
	global_load_dwordx2 v[6:7], v[8:9], off
	global_load_dwordx2 v[2:3], v[4:5], off glc
.LBB5_11:                               ; =>This Inner Loop Header: Depth=1
	s_waitcnt vmcnt(0)
	v_mul_lo_u32 v8, v3, v6
	v_mul_lo_u32 v9, v2, v7
	v_mad_u64_u32 v[0:1], s[2:3], v2, v6, 0
	v_add3_u32 v1, v1, v9, v8
	global_atomic_cmpswap_x2 v[0:1], v[4:5], v[0:3], off glc
	s_waitcnt vmcnt(0)
	v_cmp_eq_u64_e32 vcc, v[2:3], v[0:1]
	v_mov_b32_e32 v3, v1
	s_or_b64 s[0:1], vcc, s[0:1]
	v_mov_b32_e32 v2, v0
	s_andn2_b64 exec, exec, s[0:1]
	s_cbranch_execnz .LBB5_11
.LBB5_12:
	s_endpgm
	.section	.rodata,"a",@progbits
	.p2align	6, 0x0
	.amdhsa_kernel _Z14scatter_kernelIlL13ReductionType1EEvPKT_10TensorInfoIllEPS1_iiii
		.amdhsa_group_segment_fixed_size 0
		.amdhsa_private_segment_fixed_size 0
		.amdhsa_kernarg_size 704
		.amdhsa_user_sgpr_count 6
		.amdhsa_user_sgpr_private_segment_buffer 1
		.amdhsa_user_sgpr_dispatch_ptr 0
		.amdhsa_user_sgpr_queue_ptr 0
		.amdhsa_user_sgpr_kernarg_segment_ptr 1
		.amdhsa_user_sgpr_dispatch_id 0
		.amdhsa_user_sgpr_flat_scratch_init 0
		.amdhsa_user_sgpr_private_segment_size 0
		.amdhsa_uses_dynamic_stack 0
		.amdhsa_system_sgpr_private_segment_wavefront_offset 0
		.amdhsa_system_sgpr_workgroup_id_x 1
		.amdhsa_system_sgpr_workgroup_id_y 0
		.amdhsa_system_sgpr_workgroup_id_z 0
		.amdhsa_system_sgpr_workgroup_info 0
		.amdhsa_system_vgpr_workitem_id 0
		.amdhsa_next_free_vgpr 21
		.amdhsa_next_free_sgpr 29
		.amdhsa_reserve_vcc 1
		.amdhsa_reserve_flat_scratch 0
		.amdhsa_float_round_mode_32 0
		.amdhsa_float_round_mode_16_64 0
		.amdhsa_float_denorm_mode_32 3
		.amdhsa_float_denorm_mode_16_64 3
		.amdhsa_dx10_clamp 1
		.amdhsa_ieee_mode 1
		.amdhsa_fp16_overflow 0
		.amdhsa_exception_fp_ieee_invalid_op 0
		.amdhsa_exception_fp_denorm_src 0
		.amdhsa_exception_fp_ieee_div_zero 0
		.amdhsa_exception_fp_ieee_overflow 0
		.amdhsa_exception_fp_ieee_underflow 0
		.amdhsa_exception_fp_ieee_inexact 0
		.amdhsa_exception_int_div_zero 0
	.end_amdhsa_kernel
	.section	.text._Z14scatter_kernelIlL13ReductionType1EEvPKT_10TensorInfoIllEPS1_iiii,"axG",@progbits,_Z14scatter_kernelIlL13ReductionType1EEvPKT_10TensorInfoIllEPS1_iiii,comdat
.Lfunc_end5:
	.size	_Z14scatter_kernelIlL13ReductionType1EEvPKT_10TensorInfoIllEPS1_iiii, .Lfunc_end5-_Z14scatter_kernelIlL13ReductionType1EEvPKT_10TensorInfoIllEPS1_iiii
                                        ; -- End function
	.set _Z14scatter_kernelIlL13ReductionType1EEvPKT_10TensorInfoIllEPS1_iiii.num_vgpr, 21
	.set _Z14scatter_kernelIlL13ReductionType1EEvPKT_10TensorInfoIllEPS1_iiii.num_agpr, 0
	.set _Z14scatter_kernelIlL13ReductionType1EEvPKT_10TensorInfoIllEPS1_iiii.numbered_sgpr, 29
	.set _Z14scatter_kernelIlL13ReductionType1EEvPKT_10TensorInfoIllEPS1_iiii.num_named_barrier, 0
	.set _Z14scatter_kernelIlL13ReductionType1EEvPKT_10TensorInfoIllEPS1_iiii.private_seg_size, 0
	.set _Z14scatter_kernelIlL13ReductionType1EEvPKT_10TensorInfoIllEPS1_iiii.uses_vcc, 1
	.set _Z14scatter_kernelIlL13ReductionType1EEvPKT_10TensorInfoIllEPS1_iiii.uses_flat_scratch, 0
	.set _Z14scatter_kernelIlL13ReductionType1EEvPKT_10TensorInfoIllEPS1_iiii.has_dyn_sized_stack, 0
	.set _Z14scatter_kernelIlL13ReductionType1EEvPKT_10TensorInfoIllEPS1_iiii.has_recursion, 0
	.set _Z14scatter_kernelIlL13ReductionType1EEvPKT_10TensorInfoIllEPS1_iiii.has_indirect_call, 0
	.section	.AMDGPU.csdata,"",@progbits
; Kernel info:
; codeLenInByte = 1560
; TotalNumSgprs: 33
; NumVgprs: 21
; ScratchSize: 0
; MemoryBound: 0
; FloatMode: 240
; IeeeMode: 1
; LDSByteSize: 0 bytes/workgroup (compile time only)
; SGPRBlocks: 4
; VGPRBlocks: 5
; NumSGPRsForWavesPerEU: 33
; NumVGPRsForWavesPerEU: 21
; Occupancy: 10
; WaveLimiterHint : 1
; COMPUTE_PGM_RSRC2:SCRATCH_EN: 0
; COMPUTE_PGM_RSRC2:USER_SGPR: 6
; COMPUTE_PGM_RSRC2:TRAP_HANDLER: 0
; COMPUTE_PGM_RSRC2:TGID_X_EN: 1
; COMPUTE_PGM_RSRC2:TGID_Y_EN: 0
; COMPUTE_PGM_RSRC2:TGID_Z_EN: 0
; COMPUTE_PGM_RSRC2:TIDIG_COMP_CNT: 0
	.section	.text._Z14scatter_kernelIlL13ReductionType2EEvPKT_10TensorInfoIllEPS1_iiii,"axG",@progbits,_Z14scatter_kernelIlL13ReductionType2EEvPKT_10TensorInfoIllEPS1_iiii,comdat
	.protected	_Z14scatter_kernelIlL13ReductionType2EEvPKT_10TensorInfoIllEPS1_iiii ; -- Begin function _Z14scatter_kernelIlL13ReductionType2EEvPKT_10TensorInfoIllEPS1_iiii
	.globl	_Z14scatter_kernelIlL13ReductionType2EEvPKT_10TensorInfoIllEPS1_iiii
	.p2align	8
	.type	_Z14scatter_kernelIlL13ReductionType2EEvPKT_10TensorInfoIllEPS1_iiii,@function
_Z14scatter_kernelIlL13ReductionType2EEvPKT_10TensorInfoIllEPS1_iiii: ; @_Z14scatter_kernelIlL13ReductionType2EEvPKT_10TensorInfoIllEPS1_iiii
; %bb.0:
	s_load_dword s0, s[4:5], 0x1cc
	s_load_dwordx4 s[8:11], s[4:5], 0x1b0
	s_waitcnt lgkmcnt(0)
	s_and_b32 s0, s0, 0xffff
	s_mul_i32 s6, s6, s0
	v_add_u32_e32 v0, s6, v0
	v_cmp_gt_i32_e32 vcc, s11, v0
	s_and_saveexec_b64 s[0:1], vcc
	s_cbranch_execz .LBB6_16
; %bb.1:
	s_add_u32 s2, s4, 8
	s_addc_u32 s3, s5, 0
	s_abs_i32 s11, s9
	s_mul_i32 s20, s9, s8
	v_cvt_f32_u32_e32 v1, s11
	s_abs_i32 s8, s20
	v_cvt_f32_u32_e32 v2, s8
	s_sub_i32 s0, 0, s11
	v_rcp_iflag_f32_e32 v1, v1
	v_sub_u32_e32 v5, 0, v0
	v_rcp_iflag_f32_e32 v2, v2
	v_max_i32_e32 v12, v0, v5
	v_mul_f32_e32 v1, 0x4f7ffffe, v1
	v_cvt_u32_f32_e32 v1, v1
	v_mul_f32_e32 v2, 0x4f7ffffe, v2
	v_cvt_u32_f32_e32 v4, v2
	s_mov_b32 s1, 0
	v_mul_lo_u32 v2, s0, v1
	s_sub_i32 s0, 0, s8
	v_mul_lo_u32 v3, s0, v4
	s_load_dword s0, s[4:5], 0x1a0
	v_mul_hi_u32 v2, v1, v2
	v_mul_hi_u32 v5, v4, v3
	v_add_u32_e32 v1, v1, v2
	v_mad_u64_u32 v[2:3], s[6:7], v12, v1, 0
	v_add_u32_e32 v1, v4, v5
	v_mad_u64_u32 v[1:2], s[6:7], v12, v1, 0
	v_mov_b32_e32 v4, 0
	s_waitcnt lgkmcnt(0)
	s_cmp_lt_i32 s0, 2
	v_ashrrev_i32_e32 v1, 31, v0
	v_mov_b32_e32 v5, 0
	s_cbranch_scc1 .LBB6_9
; %bb.2:
	s_add_i32 s21, s0, 1
	s_add_i32 s0, s0, -1
	s_lshl_b64 s[0:1], s[0:1], 3
	s_add_u32 s0, s2, s0
	s_addc_u32 s1, s3, s1
	s_add_u32 s6, s0, 8
	v_mov_b32_e32 v4, 0
	v_mov_b32_e32 v9, v1
	s_addc_u32 s7, s1, 0
	v_mov_b32_e32 v5, 0
	v_mov_b32_e32 v6, 0
	;; [unrolled: 1-line block ×3, first 2 shown]
.LBB6_3:                                ; =>This Inner Loop Header: Depth=1
	s_load_dwordx2 s[12:13], s[6:7], 0x0
                                        ; implicit-def: $vgpr10_vgpr11
	s_waitcnt lgkmcnt(0)
	v_or_b32_e32 v7, s13, v9
	v_cmp_ne_u64_e32 vcc, 0, v[6:7]
	s_and_saveexec_b64 s[0:1], vcc
	s_xor_b64 s[14:15], exec, s[0:1]
	s_cbranch_execz .LBB6_5
; %bb.4:                                ;   in Loop: Header=BB6_3 Depth=1
	s_ashr_i32 s16, s13, 31
	s_add_u32 s0, s12, s16
	s_mov_b32 s17, s16
	s_addc_u32 s1, s13, s16
	s_xor_b64 s[18:19], s[0:1], s[16:17]
	v_cvt_f32_u32_e32 v7, s18
	v_cvt_f32_u32_e32 v10, s19
	s_sub_u32 s17, 0, s18
	s_subb_u32 s22, 0, s19
	v_mac_f32_e32 v7, 0x4f800000, v10
	v_rcp_f32_e32 v7, v7
	v_mul_f32_e32 v7, 0x5f7ffffc, v7
	v_mul_f32_e32 v10, 0x2f800000, v7
	v_trunc_f32_e32 v10, v10
	v_mac_f32_e32 v7, 0xcf800000, v10
	v_cvt_u32_f32_e32 v10, v10
	v_cvt_u32_f32_e32 v7, v7
	v_readfirstlane_b32 s23, v10
	v_readfirstlane_b32 s0, v7
	s_mul_i32 s1, s17, s23
	s_mul_hi_u32 s25, s17, s0
	s_mul_i32 s24, s22, s0
	s_add_i32 s1, s25, s1
	s_add_i32 s1, s1, s24
	s_mul_i32 s26, s17, s0
	s_mul_i32 s25, s0, s1
	s_mul_hi_u32 s27, s0, s26
	s_mul_hi_u32 s24, s0, s1
	s_add_u32 s25, s27, s25
	s_addc_u32 s24, 0, s24
	s_mul_hi_u32 s28, s23, s26
	s_mul_i32 s26, s23, s26
	s_add_u32 s25, s25, s26
	s_mul_hi_u32 s27, s23, s1
	s_addc_u32 s24, s24, s28
	s_addc_u32 s25, s27, 0
	s_mul_i32 s1, s23, s1
	s_add_u32 s1, s24, s1
	s_addc_u32 s24, 0, s25
	s_add_u32 s25, s0, s1
	s_cselect_b64 s[0:1], -1, 0
	s_cmp_lg_u64 s[0:1], 0
	s_addc_u32 s23, s23, s24
	s_mul_i32 s0, s17, s23
	s_mul_hi_u32 s1, s17, s25
	s_add_i32 s0, s1, s0
	s_mul_i32 s22, s22, s25
	s_add_i32 s0, s0, s22
	s_mul_i32 s17, s17, s25
	s_mul_hi_u32 s22, s23, s17
	s_mul_i32 s24, s23, s17
	s_mul_i32 s27, s25, s0
	s_mul_hi_u32 s17, s25, s17
	s_mul_hi_u32 s26, s25, s0
	s_add_u32 s17, s17, s27
	s_addc_u32 s26, 0, s26
	s_add_u32 s17, s17, s24
	s_mul_hi_u32 s1, s23, s0
	s_addc_u32 s17, s26, s22
	s_addc_u32 s1, s1, 0
	s_mul_i32 s0, s23, s0
	s_add_u32 s0, s17, s0
	s_addc_u32 s17, 0, s1
	s_add_u32 s22, s25, s0
	s_cselect_b64 s[0:1], -1, 0
	v_ashrrev_i32_e32 v7, 31, v9
	s_cmp_lg_u64 s[0:1], 0
	v_add_co_u32_e32 v10, vcc, v8, v7
	s_addc_u32 s17, s23, s17
	v_xor_b32_e32 v15, v10, v7
	v_mad_u64_u32 v[10:11], s[0:1], v15, s17, 0
	v_mul_hi_u32 v14, v15, s22
	v_addc_co_u32_e32 v13, vcc, v9, v7, vcc
	v_xor_b32_e32 v16, v13, v7
	v_add_co_u32_e32 v17, vcc, v14, v10
	v_addc_co_u32_e32 v18, vcc, 0, v11, vcc
	v_mad_u64_u32 v[10:11], s[0:1], v16, s22, 0
	v_mad_u64_u32 v[13:14], s[0:1], v16, s17, 0
	v_add_co_u32_e32 v10, vcc, v17, v10
	v_addc_co_u32_e32 v10, vcc, v18, v11, vcc
	v_addc_co_u32_e32 v11, vcc, 0, v14, vcc
	v_add_co_u32_e32 v13, vcc, v10, v13
	v_addc_co_u32_e32 v14, vcc, 0, v11, vcc
	v_mul_lo_u32 v17, s19, v13
	v_mul_lo_u32 v18, s18, v14
	v_mad_u64_u32 v[10:11], s[0:1], s18, v13, 0
	v_xor_b32_e32 v7, s16, v7
	v_add3_u32 v11, v11, v18, v17
	v_sub_u32_e32 v17, v16, v11
	v_mov_b32_e32 v18, s19
	v_sub_co_u32_e32 v10, vcc, v15, v10
	v_subb_co_u32_e64 v15, s[0:1], v17, v18, vcc
	v_subrev_co_u32_e64 v17, s[0:1], s18, v10
	v_subbrev_co_u32_e64 v15, s[0:1], 0, v15, s[0:1]
	v_cmp_le_u32_e64 s[0:1], s19, v15
	v_cndmask_b32_e64 v18, 0, -1, s[0:1]
	v_cmp_le_u32_e64 s[0:1], s18, v17
	v_cndmask_b32_e64 v17, 0, -1, s[0:1]
	v_cmp_eq_u32_e64 s[0:1], s19, v15
	v_cndmask_b32_e64 v15, v18, v17, s[0:1]
	v_add_co_u32_e64 v17, s[0:1], 2, v13
	v_subb_co_u32_e32 v11, vcc, v16, v11, vcc
	v_addc_co_u32_e64 v18, s[0:1], 0, v14, s[0:1]
	v_cmp_le_u32_e32 vcc, s19, v11
	v_add_co_u32_e64 v19, s[0:1], 1, v13
	v_cndmask_b32_e64 v16, 0, -1, vcc
	v_cmp_le_u32_e32 vcc, s18, v10
	v_addc_co_u32_e64 v20, s[0:1], 0, v14, s[0:1]
	v_cndmask_b32_e64 v10, 0, -1, vcc
	v_cmp_eq_u32_e32 vcc, s19, v11
	v_cmp_ne_u32_e64 s[0:1], 0, v15
	v_cndmask_b32_e32 v10, v16, v10, vcc
	v_cndmask_b32_e64 v15, v20, v18, s[0:1]
	v_cmp_ne_u32_e32 vcc, 0, v10
	v_cndmask_b32_e64 v11, v19, v17, s[0:1]
	v_cndmask_b32_e32 v10, v14, v15, vcc
	v_cndmask_b32_e32 v11, v13, v11, vcc
	v_xor_b32_e32 v13, v10, v7
	v_xor_b32_e32 v10, v11, v7
	v_sub_co_u32_e32 v10, vcc, v10, v7
	v_subb_co_u32_e32 v11, vcc, v13, v7, vcc
.LBB6_5:                                ;   in Loop: Header=BB6_3 Depth=1
	s_andn2_saveexec_b64 s[0:1], s[14:15]
	s_cbranch_execz .LBB6_7
; %bb.6:                                ;   in Loop: Header=BB6_3 Depth=1
	v_cvt_f32_u32_e32 v7, s12
	s_sub_i32 s14, 0, s12
	v_rcp_iflag_f32_e32 v7, v7
	v_mul_f32_e32 v7, 0x4f7ffffe, v7
	v_cvt_u32_f32_e32 v7, v7
	v_mul_lo_u32 v10, s14, v7
	v_mul_hi_u32 v10, v7, v10
	v_add_u32_e32 v7, v7, v10
	v_mul_hi_u32 v7, v8, v7
	v_mul_lo_u32 v10, v7, s12
	v_add_u32_e32 v11, 1, v7
	v_sub_u32_e32 v10, v8, v10
	v_subrev_u32_e32 v13, s12, v10
	v_cmp_le_u32_e32 vcc, s12, v10
	v_cndmask_b32_e32 v10, v10, v13, vcc
	v_cndmask_b32_e32 v7, v7, v11, vcc
	v_add_u32_e32 v11, 1, v7
	v_cmp_le_u32_e32 vcc, s12, v10
	v_cndmask_b32_e32 v10, v7, v11, vcc
	v_mov_b32_e32 v11, v6
.LBB6_7:                                ;   in Loop: Header=BB6_3 Depth=1
	s_or_b64 exec, exec, s[0:1]
	v_mul_lo_u32 v7, v11, s12
	v_mul_lo_u32 v15, v10, s13
	v_mad_u64_u32 v[13:14], s[0:1], v10, s12, 0
	s_load_dwordx2 s[0:1], s[6:7], 0xc8
	s_add_i32 s21, s21, -1
	v_add3_u32 v7, v14, v15, v7
	v_sub_co_u32_e32 v8, vcc, v8, v13
	v_subb_co_u32_e32 v7, vcc, v9, v7, vcc
	s_waitcnt lgkmcnt(0)
	v_mul_lo_u32 v7, s0, v7
	v_mul_lo_u32 v9, s1, v8
	v_mad_u64_u32 v[4:5], s[0:1], s0, v8, v[4:5]
	s_add_u32 s6, s6, -8
	s_addc_u32 s7, s7, -1
	s_cmp_gt_u32 s21, 2
	v_add3_u32 v5, v9, v5, v7
	s_cbranch_scc0 .LBB6_10
; %bb.8:                                ;   in Loop: Header=BB6_3 Depth=1
	v_mov_b32_e32 v8, v10
	v_mov_b32_e32 v9, v11
	s_branch .LBB6_3
.LBB6_9:
	v_mov_b32_e32 v11, v1
	v_mov_b32_e32 v10, v0
.LBB6_10:
	s_load_dwordx2 s[6:7], s[4:5], 0x1a8
	s_load_dword s1, s[2:3], 0xd0
	s_load_dwordx2 s[12:13], s[2:3], 0x0
	v_mul_lo_u32 v3, v3, s11
	s_ashr_i32 s0, s20, 31
	v_add_u32_e32 v11, 1, v2
	s_waitcnt lgkmcnt(0)
	v_mad_u64_u32 v[5:6], s[2:3], s1, v10, v[4:5]
	v_mov_b32_e32 v4, 0
	v_mov_b32_e32 v7, s13
	v_ashrrev_i64 v[5:6], 29, v[4:5]
	v_mul_lo_u32 v10, v2, s8
	v_add_co_u32_e32 v5, vcc, s12, v5
	v_addc_co_u32_e32 v6, vcc, v7, v6, vcc
	global_load_dwordx2 v[5:6], v[5:6], off
	s_load_dwordx2 s[2:3], s[4:5], 0x0
	v_lshlrev_b64 v[7:8], 3, v[0:1]
	v_sub_u32_e32 v0, v12, v3
	v_sub_u32_e32 v3, v12, v10
	v_cmp_le_u32_e32 vcc, s8, v3
	v_xor_b32_e32 v9, s0, v1
	v_subrev_u32_e32 v10, s11, v0
	v_cndmask_b32_e32 v2, v2, v11, vcc
	v_subrev_u32_e32 v11, s8, v3
	v_cmp_le_u32_e64 s[0:1], s11, v0
	s_waitcnt lgkmcnt(0)
	v_mov_b32_e32 v13, s3
	v_cndmask_b32_e64 v0, v0, v10, s[0:1]
	v_cndmask_b32_e32 v3, v3, v11, vcc
	v_add_co_u32_e32 v10, vcc, s2, v7
	v_addc_co_u32_e32 v11, vcc, v13, v8, vcc
	v_add_u32_e32 v14, 1, v2
	v_cmp_le_u32_e32 vcc, s8, v3
	v_subrev_u32_e32 v7, s11, v0
	v_cndmask_b32_e32 v2, v2, v14, vcc
	v_cmp_le_u32_e32 vcc, s11, v0
	v_cndmask_b32_e32 v0, v0, v7, vcc
	v_xor_b32_e32 v2, v2, v9
	s_mul_i32 s4, s10, s9
	v_xor_b32_e32 v3, v0, v1
	v_sub_u32_e32 v0, v2, v9
	v_mul_lo_u32 v0, s4, v0
	s_ashr_i32 s5, s9, 31
	v_sub_u32_e32 v1, v3, v1
	v_ashrrev_i32_e32 v2, 31, v1
	v_lshlrev_b64 v[2:3], 3, v[1:2]
	v_ashrrev_i32_e32 v1, 31, v0
	v_lshlrev_b64 v[0:1], 3, v[0:1]
	v_mov_b32_e32 v12, s7
	v_add_co_u32_e32 v9, vcc, s6, v0
	v_addc_co_u32_e32 v12, vcc, v12, v1, vcc
	s_mov_b64 s[2:3], 0
	s_waitcnt vmcnt(0)
	v_mul_lo_u32 v7, v5, s5
	v_mul_lo_u32 v8, v6, s9
	v_mad_u64_u32 v[5:6], s[0:1], v5, s9, 0
	v_add3_u32 v6, v6, v7, v8
	v_lshlrev_b64 v[0:1], 3, v[5:6]
	v_add_co_u32_e32 v0, vcc, v9, v0
	v_addc_co_u32_e32 v1, vcc, v12, v1, vcc
	v_add_co_u32_e32 v6, vcc, v0, v2
	v_addc_co_u32_e32 v7, vcc, v1, v3, vcc
	global_load_dwordx2 v[8:9], v[10:11], off
	global_load_dwordx2 v[2:3], v[6:7], off glc
	s_branch .LBB6_12
.LBB6_11:                               ;   in Loop: Header=BB6_12 Depth=1
	s_or_b64 exec, exec, s[0:1]
	global_atomic_cmpswap_x2 v[0:1], v[6:7], v[0:3], off glc
	s_waitcnt vmcnt(0)
	v_cmp_eq_u64_e32 vcc, v[2:3], v[0:1]
	v_mov_b32_e32 v3, v1
	s_or_b64 s[2:3], vcc, s[2:3]
	v_mov_b32_e32 v2, v0
	s_andn2_b64 exec, exec, s[2:3]
	s_cbranch_execz .LBB6_16
.LBB6_12:                               ; =>This Inner Loop Header: Depth=1
	s_waitcnt vmcnt(0)
	v_or_b32_e32 v5, v3, v9
	v_cmp_ne_u64_e32 vcc, 0, v[4:5]
	s_and_saveexec_b64 s[0:1], vcc
	s_xor_b64 s[4:5], exec, s[0:1]
	s_cbranch_execz .LBB6_14
; %bb.13:                               ;   in Loop: Header=BB6_12 Depth=1
	v_ashrrev_i32_e32 v5, 31, v9
	v_add_co_u32_e32 v0, vcc, v8, v5
	v_addc_co_u32_e32 v1, vcc, v9, v5, vcc
	v_xor_b32_e32 v14, v1, v5
	v_xor_b32_e32 v15, v0, v5
	v_cvt_f32_u32_e32 v0, v15
	v_cvt_f32_u32_e32 v1, v14
	v_sub_co_u32_e32 v13, vcc, 0, v15
	v_subb_co_u32_e32 v16, vcc, 0, v14, vcc
	v_mac_f32_e32 v0, 0x4f800000, v1
	v_rcp_f32_e32 v0, v0
	v_mul_f32_e32 v0, 0x5f7ffffc, v0
	v_mul_f32_e32 v1, 0x2f800000, v0
	v_trunc_f32_e32 v1, v1
	v_mac_f32_e32 v0, 0xcf800000, v1
	v_cvt_u32_f32_e32 v12, v0
	v_cvt_u32_f32_e32 v17, v1
	v_mul_lo_u32 v10, v16, v12
	v_mad_u64_u32 v[0:1], s[0:1], v13, v12, 0
	v_mul_lo_u32 v11, v13, v17
	v_add3_u32 v18, v1, v11, v10
	v_mad_u64_u32 v[10:11], s[0:1], v12, v18, 0
	v_mul_hi_u32 v1, v12, v0
	v_add_co_u32_e32 v19, vcc, v1, v10
	v_mad_u64_u32 v[0:1], s[0:1], v17, v0, 0
	v_addc_co_u32_e32 v20, vcc, 0, v11, vcc
	v_mad_u64_u32 v[10:11], s[0:1], v17, v18, 0
	v_add_co_u32_e32 v0, vcc, v19, v0
	v_addc_co_u32_e32 v0, vcc, v20, v1, vcc
	v_addc_co_u32_e32 v1, vcc, 0, v11, vcc
	v_add_co_u32_e32 v0, vcc, v0, v10
	v_addc_co_u32_e32 v1, vcc, 0, v1, vcc
	v_add_co_u32_e32 v18, vcc, v12, v0
	v_addc_co_u32_e32 v17, vcc, v17, v1, vcc
	v_mul_lo_u32 v10, v13, v17
	v_mul_lo_u32 v11, v16, v18
	v_mad_u64_u32 v[0:1], s[0:1], v13, v18, 0
	v_add3_u32 v1, v1, v10, v11
	v_mad_u64_u32 v[12:13], s[0:1], v18, v1, 0
	v_mul_hi_u32 v16, v18, v0
	v_mad_u64_u32 v[10:11], s[0:1], v17, v1, 0
	v_mad_u64_u32 v[0:1], s[0:1], v17, v0, 0
	v_add_co_u32_e32 v12, vcc, v16, v12
	v_addc_co_u32_e32 v13, vcc, 0, v13, vcc
	v_add_co_u32_e32 v0, vcc, v12, v0
	v_addc_co_u32_e32 v0, vcc, v13, v1, vcc
	v_addc_co_u32_e32 v1, vcc, 0, v11, vcc
	v_add_co_u32_e32 v0, vcc, v0, v10
	v_addc_co_u32_e32 v1, vcc, 0, v1, vcc
	v_add_co_u32_e32 v10, vcc, v18, v0
	v_addc_co_u32_e32 v11, vcc, v17, v1, vcc
	v_ashrrev_i32_e32 v12, 31, v3
	v_add_co_u32_e32 v0, vcc, v2, v12
	v_xor_b32_e32 v16, v0, v12
	v_mad_u64_u32 v[0:1], s[0:1], v16, v11, 0
	v_mul_hi_u32 v17, v16, v10
	v_addc_co_u32_e32 v13, vcc, v3, v12, vcc
	v_xor_b32_e32 v13, v13, v12
	v_add_co_u32_e32 v17, vcc, v17, v0
	v_addc_co_u32_e32 v18, vcc, 0, v1, vcc
	v_mad_u64_u32 v[0:1], s[0:1], v13, v10, 0
	v_mad_u64_u32 v[10:11], s[0:1], v13, v11, 0
	v_add_co_u32_e32 v0, vcc, v17, v0
	v_addc_co_u32_e32 v0, vcc, v18, v1, vcc
	v_addc_co_u32_e32 v1, vcc, 0, v11, vcc
	v_add_co_u32_e32 v10, vcc, v0, v10
	v_addc_co_u32_e32 v11, vcc, 0, v1, vcc
	v_mul_lo_u32 v17, v14, v10
	v_mul_lo_u32 v18, v15, v11
	v_mad_u64_u32 v[0:1], s[0:1], v15, v10, 0
	v_xor_b32_e32 v5, v12, v5
	v_add3_u32 v1, v1, v18, v17
	v_sub_u32_e32 v17, v13, v1
	v_sub_co_u32_e32 v0, vcc, v16, v0
	v_subb_co_u32_e64 v16, s[0:1], v17, v14, vcc
	v_sub_co_u32_e64 v17, s[0:1], v0, v15
	v_subbrev_co_u32_e64 v16, s[0:1], 0, v16, s[0:1]
	v_cmp_ge_u32_e64 s[0:1], v16, v14
	v_cndmask_b32_e64 v18, 0, -1, s[0:1]
	v_cmp_ge_u32_e64 s[0:1], v17, v15
	v_cndmask_b32_e64 v17, 0, -1, s[0:1]
	v_cmp_eq_u32_e64 s[0:1], v16, v14
	v_cndmask_b32_e64 v16, v18, v17, s[0:1]
	v_add_co_u32_e64 v17, s[0:1], 2, v10
	v_subb_co_u32_e32 v1, vcc, v13, v1, vcc
	v_addc_co_u32_e64 v18, s[0:1], 0, v11, s[0:1]
	v_cmp_ge_u32_e32 vcc, v1, v14
	v_add_co_u32_e64 v19, s[0:1], 1, v10
	v_cndmask_b32_e64 v13, 0, -1, vcc
	v_cmp_ge_u32_e32 vcc, v0, v15
	v_addc_co_u32_e64 v20, s[0:1], 0, v11, s[0:1]
	v_cndmask_b32_e64 v0, 0, -1, vcc
	v_cmp_eq_u32_e32 vcc, v1, v14
	v_cmp_ne_u32_e64 s[0:1], 0, v16
	v_cndmask_b32_e32 v0, v13, v0, vcc
	v_cndmask_b32_e64 v16, v20, v18, s[0:1]
	v_cmp_ne_u32_e32 vcc, 0, v0
	v_cndmask_b32_e64 v1, v19, v17, s[0:1]
	v_cndmask_b32_e32 v0, v11, v16, vcc
	v_cndmask_b32_e32 v1, v10, v1, vcc
	v_xor_b32_e32 v10, v0, v5
	v_xor_b32_e32 v0, v1, v5
	v_sub_co_u32_e32 v0, vcc, v0, v5
	v_subb_co_u32_e32 v1, vcc, v10, v5, vcc
.LBB6_14:                               ;   in Loop: Header=BB6_12 Depth=1
	s_andn2_saveexec_b64 s[0:1], s[4:5]
	s_cbranch_execz .LBB6_11
; %bb.15:                               ;   in Loop: Header=BB6_12 Depth=1
	v_cvt_f32_u32_e32 v0, v8
	v_sub_u32_e32 v1, 0, v8
	v_rcp_iflag_f32_e32 v0, v0
	v_mul_f32_e32 v0, 0x4f7ffffe, v0
	v_cvt_u32_f32_e32 v0, v0
	v_mul_lo_u32 v1, v1, v0
	v_mul_hi_u32 v1, v0, v1
	v_add_u32_e32 v0, v0, v1
	v_mul_hi_u32 v0, v2, v0
	v_mul_lo_u32 v1, v0, v8
	v_add_u32_e32 v5, 1, v0
	v_sub_u32_e32 v1, v2, v1
	v_sub_u32_e32 v10, v1, v8
	v_cmp_ge_u32_e32 vcc, v1, v8
	v_cndmask_b32_e32 v1, v1, v10, vcc
	v_cndmask_b32_e32 v0, v0, v5, vcc
	v_add_u32_e32 v5, 1, v0
	v_cmp_ge_u32_e32 vcc, v1, v8
	v_cndmask_b32_e32 v0, v0, v5, vcc
	v_mov_b32_e32 v1, v4
	s_branch .LBB6_11
.LBB6_16:
	s_endpgm
	.section	.rodata,"a",@progbits
	.p2align	6, 0x0
	.amdhsa_kernel _Z14scatter_kernelIlL13ReductionType2EEvPKT_10TensorInfoIllEPS1_iiii
		.amdhsa_group_segment_fixed_size 0
		.amdhsa_private_segment_fixed_size 0
		.amdhsa_kernarg_size 704
		.amdhsa_user_sgpr_count 6
		.amdhsa_user_sgpr_private_segment_buffer 1
		.amdhsa_user_sgpr_dispatch_ptr 0
		.amdhsa_user_sgpr_queue_ptr 0
		.amdhsa_user_sgpr_kernarg_segment_ptr 1
		.amdhsa_user_sgpr_dispatch_id 0
		.amdhsa_user_sgpr_flat_scratch_init 0
		.amdhsa_user_sgpr_private_segment_size 0
		.amdhsa_uses_dynamic_stack 0
		.amdhsa_system_sgpr_private_segment_wavefront_offset 0
		.amdhsa_system_sgpr_workgroup_id_x 1
		.amdhsa_system_sgpr_workgroup_id_y 0
		.amdhsa_system_sgpr_workgroup_id_z 0
		.amdhsa_system_sgpr_workgroup_info 0
		.amdhsa_system_vgpr_workitem_id 0
		.amdhsa_next_free_vgpr 21
		.amdhsa_next_free_sgpr 29
		.amdhsa_reserve_vcc 1
		.amdhsa_reserve_flat_scratch 0
		.amdhsa_float_round_mode_32 0
		.amdhsa_float_round_mode_16_64 0
		.amdhsa_float_denorm_mode_32 3
		.amdhsa_float_denorm_mode_16_64 3
		.amdhsa_dx10_clamp 1
		.amdhsa_ieee_mode 1
		.amdhsa_fp16_overflow 0
		.amdhsa_exception_fp_ieee_invalid_op 0
		.amdhsa_exception_fp_denorm_src 0
		.amdhsa_exception_fp_ieee_div_zero 0
		.amdhsa_exception_fp_ieee_overflow 0
		.amdhsa_exception_fp_ieee_underflow 0
		.amdhsa_exception_fp_ieee_inexact 0
		.amdhsa_exception_int_div_zero 0
	.end_amdhsa_kernel
	.section	.text._Z14scatter_kernelIlL13ReductionType2EEvPKT_10TensorInfoIllEPS1_iiii,"axG",@progbits,_Z14scatter_kernelIlL13ReductionType2EEvPKT_10TensorInfoIllEPS1_iiii,comdat
.Lfunc_end6:
	.size	_Z14scatter_kernelIlL13ReductionType2EEvPKT_10TensorInfoIllEPS1_iiii, .Lfunc_end6-_Z14scatter_kernelIlL13ReductionType2EEvPKT_10TensorInfoIllEPS1_iiii
                                        ; -- End function
	.set _Z14scatter_kernelIlL13ReductionType2EEvPKT_10TensorInfoIllEPS1_iiii.num_vgpr, 21
	.set _Z14scatter_kernelIlL13ReductionType2EEvPKT_10TensorInfoIllEPS1_iiii.num_agpr, 0
	.set _Z14scatter_kernelIlL13ReductionType2EEvPKT_10TensorInfoIllEPS1_iiii.numbered_sgpr, 29
	.set _Z14scatter_kernelIlL13ReductionType2EEvPKT_10TensorInfoIllEPS1_iiii.num_named_barrier, 0
	.set _Z14scatter_kernelIlL13ReductionType2EEvPKT_10TensorInfoIllEPS1_iiii.private_seg_size, 0
	.set _Z14scatter_kernelIlL13ReductionType2EEvPKT_10TensorInfoIllEPS1_iiii.uses_vcc, 1
	.set _Z14scatter_kernelIlL13ReductionType2EEvPKT_10TensorInfoIllEPS1_iiii.uses_flat_scratch, 0
	.set _Z14scatter_kernelIlL13ReductionType2EEvPKT_10TensorInfoIllEPS1_iiii.has_dyn_sized_stack, 0
	.set _Z14scatter_kernelIlL13ReductionType2EEvPKT_10TensorInfoIllEPS1_iiii.has_recursion, 0
	.set _Z14scatter_kernelIlL13ReductionType2EEvPKT_10TensorInfoIllEPS1_iiii.has_indirect_call, 0
	.section	.AMDGPU.csdata,"",@progbits
; Kernel info:
; codeLenInByte = 2264
; TotalNumSgprs: 33
; NumVgprs: 21
; ScratchSize: 0
; MemoryBound: 0
; FloatMode: 240
; IeeeMode: 1
; LDSByteSize: 0 bytes/workgroup (compile time only)
; SGPRBlocks: 4
; VGPRBlocks: 5
; NumSGPRsForWavesPerEU: 33
; NumVGPRsForWavesPerEU: 21
; Occupancy: 10
; WaveLimiterHint : 1
; COMPUTE_PGM_RSRC2:SCRATCH_EN: 0
; COMPUTE_PGM_RSRC2:USER_SGPR: 6
; COMPUTE_PGM_RSRC2:TRAP_HANDLER: 0
; COMPUTE_PGM_RSRC2:TGID_X_EN: 1
; COMPUTE_PGM_RSRC2:TGID_Y_EN: 0
; COMPUTE_PGM_RSRC2:TGID_Z_EN: 0
; COMPUTE_PGM_RSRC2:TIDIG_COMP_CNT: 0
	.section	.text._Z14scatter_kernelIlL13ReductionType0EEvPKT_10TensorInfoIllEPS1_iiii,"axG",@progbits,_Z14scatter_kernelIlL13ReductionType0EEvPKT_10TensorInfoIllEPS1_iiii,comdat
	.protected	_Z14scatter_kernelIlL13ReductionType0EEvPKT_10TensorInfoIllEPS1_iiii ; -- Begin function _Z14scatter_kernelIlL13ReductionType0EEvPKT_10TensorInfoIllEPS1_iiii
	.globl	_Z14scatter_kernelIlL13ReductionType0EEvPKT_10TensorInfoIllEPS1_iiii
	.p2align	8
	.type	_Z14scatter_kernelIlL13ReductionType0EEvPKT_10TensorInfoIllEPS1_iiii,@function
_Z14scatter_kernelIlL13ReductionType0EEvPKT_10TensorInfoIllEPS1_iiii: ; @_Z14scatter_kernelIlL13ReductionType0EEvPKT_10TensorInfoIllEPS1_iiii
; %bb.0:
	s_load_dword s0, s[4:5], 0x1cc
	s_load_dwordx4 s[8:11], s[4:5], 0x1b0
	s_waitcnt lgkmcnt(0)
	s_and_b32 s0, s0, 0xffff
	s_mul_i32 s6, s6, s0
	v_add_u32_e32 v0, s6, v0
	v_cmp_gt_i32_e32 vcc, s11, v0
	s_and_saveexec_b64 s[0:1], vcc
	s_cbranch_execz .LBB7_12
; %bb.1:
	s_add_u32 s2, s4, 8
	s_addc_u32 s3, s5, 0
	s_abs_i32 s11, s9
	s_mul_i32 s20, s9, s8
	v_cvt_f32_u32_e32 v1, s11
	s_abs_i32 s8, s20
	v_cvt_f32_u32_e32 v2, s8
	s_sub_i32 s0, 0, s11
	v_rcp_iflag_f32_e32 v1, v1
	v_sub_u32_e32 v5, 0, v0
	v_rcp_iflag_f32_e32 v2, v2
	v_max_i32_e32 v12, v0, v5
	v_mul_f32_e32 v1, 0x4f7ffffe, v1
	v_cvt_u32_f32_e32 v1, v1
	v_mul_f32_e32 v2, 0x4f7ffffe, v2
	v_cvt_u32_f32_e32 v4, v2
	s_mov_b32 s1, 0
	v_mul_lo_u32 v2, s0, v1
	s_sub_i32 s0, 0, s8
	v_mul_lo_u32 v3, s0, v4
	s_load_dword s0, s[4:5], 0x1a0
	v_mul_hi_u32 v2, v1, v2
	v_mul_hi_u32 v5, v4, v3
	v_add_u32_e32 v1, v1, v2
	v_mad_u64_u32 v[2:3], s[6:7], v12, v1, 0
	v_add_u32_e32 v1, v4, v5
	v_mad_u64_u32 v[1:2], s[6:7], v12, v1, 0
	v_mov_b32_e32 v4, 0
	s_waitcnt lgkmcnt(0)
	s_cmp_lt_i32 s0, 2
	v_ashrrev_i32_e32 v1, 31, v0
	v_mov_b32_e32 v5, 0
	s_cbranch_scc1 .LBB7_9
; %bb.2:
	s_add_i32 s21, s0, 1
	s_add_i32 s0, s0, -1
	s_lshl_b64 s[0:1], s[0:1], 3
	s_add_u32 s0, s2, s0
	s_addc_u32 s1, s3, s1
	s_add_u32 s6, s0, 8
	v_mov_b32_e32 v4, 0
	v_mov_b32_e32 v9, v1
	s_addc_u32 s7, s1, 0
	v_mov_b32_e32 v5, 0
	v_mov_b32_e32 v6, 0
	;; [unrolled: 1-line block ×3, first 2 shown]
.LBB7_3:                                ; =>This Inner Loop Header: Depth=1
	s_load_dwordx2 s[12:13], s[6:7], 0x0
                                        ; implicit-def: $vgpr10_vgpr11
	s_waitcnt lgkmcnt(0)
	v_or_b32_e32 v7, s13, v9
	v_cmp_ne_u64_e32 vcc, 0, v[6:7]
	s_and_saveexec_b64 s[0:1], vcc
	s_xor_b64 s[14:15], exec, s[0:1]
	s_cbranch_execz .LBB7_5
; %bb.4:                                ;   in Loop: Header=BB7_3 Depth=1
	s_ashr_i32 s16, s13, 31
	s_add_u32 s0, s12, s16
	s_mov_b32 s17, s16
	s_addc_u32 s1, s13, s16
	s_xor_b64 s[18:19], s[0:1], s[16:17]
	v_cvt_f32_u32_e32 v7, s18
	v_cvt_f32_u32_e32 v10, s19
	s_sub_u32 s17, 0, s18
	s_subb_u32 s22, 0, s19
	v_mac_f32_e32 v7, 0x4f800000, v10
	v_rcp_f32_e32 v7, v7
	v_mul_f32_e32 v7, 0x5f7ffffc, v7
	v_mul_f32_e32 v10, 0x2f800000, v7
	v_trunc_f32_e32 v10, v10
	v_mac_f32_e32 v7, 0xcf800000, v10
	v_cvt_u32_f32_e32 v10, v10
	v_cvt_u32_f32_e32 v7, v7
	v_readfirstlane_b32 s23, v10
	v_readfirstlane_b32 s0, v7
	s_mul_i32 s1, s17, s23
	s_mul_hi_u32 s25, s17, s0
	s_mul_i32 s24, s22, s0
	s_add_i32 s1, s25, s1
	s_add_i32 s1, s1, s24
	s_mul_i32 s26, s17, s0
	s_mul_i32 s25, s0, s1
	s_mul_hi_u32 s27, s0, s26
	s_mul_hi_u32 s24, s0, s1
	s_add_u32 s25, s27, s25
	s_addc_u32 s24, 0, s24
	s_mul_hi_u32 s28, s23, s26
	s_mul_i32 s26, s23, s26
	s_add_u32 s25, s25, s26
	s_mul_hi_u32 s27, s23, s1
	s_addc_u32 s24, s24, s28
	s_addc_u32 s25, s27, 0
	s_mul_i32 s1, s23, s1
	s_add_u32 s1, s24, s1
	s_addc_u32 s24, 0, s25
	s_add_u32 s25, s0, s1
	s_cselect_b64 s[0:1], -1, 0
	s_cmp_lg_u64 s[0:1], 0
	s_addc_u32 s23, s23, s24
	s_mul_i32 s0, s17, s23
	s_mul_hi_u32 s1, s17, s25
	s_add_i32 s0, s1, s0
	s_mul_i32 s22, s22, s25
	s_add_i32 s0, s0, s22
	s_mul_i32 s17, s17, s25
	s_mul_hi_u32 s22, s23, s17
	s_mul_i32 s24, s23, s17
	s_mul_i32 s27, s25, s0
	s_mul_hi_u32 s17, s25, s17
	s_mul_hi_u32 s26, s25, s0
	s_add_u32 s17, s17, s27
	s_addc_u32 s26, 0, s26
	s_add_u32 s17, s17, s24
	s_mul_hi_u32 s1, s23, s0
	s_addc_u32 s17, s26, s22
	s_addc_u32 s1, s1, 0
	s_mul_i32 s0, s23, s0
	s_add_u32 s0, s17, s0
	s_addc_u32 s17, 0, s1
	s_add_u32 s22, s25, s0
	s_cselect_b64 s[0:1], -1, 0
	v_ashrrev_i32_e32 v7, 31, v9
	s_cmp_lg_u64 s[0:1], 0
	v_add_co_u32_e32 v10, vcc, v8, v7
	s_addc_u32 s17, s23, s17
	v_xor_b32_e32 v15, v10, v7
	v_mad_u64_u32 v[10:11], s[0:1], v15, s17, 0
	v_mul_hi_u32 v14, v15, s22
	v_addc_co_u32_e32 v13, vcc, v9, v7, vcc
	v_xor_b32_e32 v16, v13, v7
	v_add_co_u32_e32 v17, vcc, v14, v10
	v_addc_co_u32_e32 v18, vcc, 0, v11, vcc
	v_mad_u64_u32 v[10:11], s[0:1], v16, s22, 0
	v_mad_u64_u32 v[13:14], s[0:1], v16, s17, 0
	v_add_co_u32_e32 v10, vcc, v17, v10
	v_addc_co_u32_e32 v10, vcc, v18, v11, vcc
	v_addc_co_u32_e32 v11, vcc, 0, v14, vcc
	v_add_co_u32_e32 v13, vcc, v10, v13
	v_addc_co_u32_e32 v14, vcc, 0, v11, vcc
	v_mul_lo_u32 v17, s19, v13
	v_mul_lo_u32 v18, s18, v14
	v_mad_u64_u32 v[10:11], s[0:1], s18, v13, 0
	v_xor_b32_e32 v7, s16, v7
	v_add3_u32 v11, v11, v18, v17
	v_sub_u32_e32 v17, v16, v11
	v_mov_b32_e32 v18, s19
	v_sub_co_u32_e32 v10, vcc, v15, v10
	v_subb_co_u32_e64 v15, s[0:1], v17, v18, vcc
	v_subrev_co_u32_e64 v17, s[0:1], s18, v10
	v_subbrev_co_u32_e64 v15, s[0:1], 0, v15, s[0:1]
	v_cmp_le_u32_e64 s[0:1], s19, v15
	v_cndmask_b32_e64 v18, 0, -1, s[0:1]
	v_cmp_le_u32_e64 s[0:1], s18, v17
	v_cndmask_b32_e64 v17, 0, -1, s[0:1]
	v_cmp_eq_u32_e64 s[0:1], s19, v15
	v_cndmask_b32_e64 v15, v18, v17, s[0:1]
	v_add_co_u32_e64 v17, s[0:1], 2, v13
	v_subb_co_u32_e32 v11, vcc, v16, v11, vcc
	v_addc_co_u32_e64 v18, s[0:1], 0, v14, s[0:1]
	v_cmp_le_u32_e32 vcc, s19, v11
	v_add_co_u32_e64 v19, s[0:1], 1, v13
	v_cndmask_b32_e64 v16, 0, -1, vcc
	v_cmp_le_u32_e32 vcc, s18, v10
	v_addc_co_u32_e64 v20, s[0:1], 0, v14, s[0:1]
	v_cndmask_b32_e64 v10, 0, -1, vcc
	v_cmp_eq_u32_e32 vcc, s19, v11
	v_cmp_ne_u32_e64 s[0:1], 0, v15
	v_cndmask_b32_e32 v10, v16, v10, vcc
	v_cndmask_b32_e64 v15, v20, v18, s[0:1]
	v_cmp_ne_u32_e32 vcc, 0, v10
	v_cndmask_b32_e64 v11, v19, v17, s[0:1]
	v_cndmask_b32_e32 v10, v14, v15, vcc
	v_cndmask_b32_e32 v11, v13, v11, vcc
	v_xor_b32_e32 v13, v10, v7
	v_xor_b32_e32 v10, v11, v7
	v_sub_co_u32_e32 v10, vcc, v10, v7
	v_subb_co_u32_e32 v11, vcc, v13, v7, vcc
.LBB7_5:                                ;   in Loop: Header=BB7_3 Depth=1
	s_andn2_saveexec_b64 s[0:1], s[14:15]
	s_cbranch_execz .LBB7_7
; %bb.6:                                ;   in Loop: Header=BB7_3 Depth=1
	v_cvt_f32_u32_e32 v7, s12
	s_sub_i32 s14, 0, s12
	v_rcp_iflag_f32_e32 v7, v7
	v_mul_f32_e32 v7, 0x4f7ffffe, v7
	v_cvt_u32_f32_e32 v7, v7
	v_mul_lo_u32 v10, s14, v7
	v_mul_hi_u32 v10, v7, v10
	v_add_u32_e32 v7, v7, v10
	v_mul_hi_u32 v7, v8, v7
	v_mul_lo_u32 v10, v7, s12
	v_add_u32_e32 v11, 1, v7
	v_sub_u32_e32 v10, v8, v10
	v_subrev_u32_e32 v13, s12, v10
	v_cmp_le_u32_e32 vcc, s12, v10
	v_cndmask_b32_e32 v10, v10, v13, vcc
	v_cndmask_b32_e32 v7, v7, v11, vcc
	v_add_u32_e32 v11, 1, v7
	v_cmp_le_u32_e32 vcc, s12, v10
	v_cndmask_b32_e32 v10, v7, v11, vcc
	v_mov_b32_e32 v11, v6
.LBB7_7:                                ;   in Loop: Header=BB7_3 Depth=1
	s_or_b64 exec, exec, s[0:1]
	v_mul_lo_u32 v7, v11, s12
	v_mul_lo_u32 v15, v10, s13
	v_mad_u64_u32 v[13:14], s[0:1], v10, s12, 0
	s_load_dwordx2 s[0:1], s[6:7], 0xc8
	s_add_i32 s21, s21, -1
	v_add3_u32 v7, v14, v15, v7
	v_sub_co_u32_e32 v8, vcc, v8, v13
	v_subb_co_u32_e32 v7, vcc, v9, v7, vcc
	s_waitcnt lgkmcnt(0)
	v_mul_lo_u32 v7, s0, v7
	v_mul_lo_u32 v9, s1, v8
	v_mad_u64_u32 v[4:5], s[0:1], s0, v8, v[4:5]
	s_add_u32 s6, s6, -8
	s_addc_u32 s7, s7, -1
	s_cmp_gt_u32 s21, 2
	v_add3_u32 v5, v9, v5, v7
	s_cbranch_scc0 .LBB7_10
; %bb.8:                                ;   in Loop: Header=BB7_3 Depth=1
	v_mov_b32_e32 v8, v10
	v_mov_b32_e32 v9, v11
	s_branch .LBB7_3
.LBB7_9:
	v_mov_b32_e32 v11, v1
	v_mov_b32_e32 v10, v0
.LBB7_10:
	s_load_dwordx2 s[6:7], s[4:5], 0x1a8
	s_load_dword s1, s[2:3], 0xd0
	s_load_dwordx2 s[12:13], s[2:3], 0x0
	v_mul_lo_u32 v3, v3, s11
	v_mul_lo_u32 v8, v2, s8
	s_ashr_i32 s0, s20, 31
	s_waitcnt lgkmcnt(0)
	v_mad_u64_u32 v[4:5], s[2:3], s1, v10, v[4:5]
	v_mov_b32_e32 v5, 0
	v_mov_b32_e32 v7, s13
	;; [unrolled: 1-line block ×3, first 2 shown]
	v_ashrrev_i64 v[4:5], 29, v[5:6]
	s_load_dwordx2 s[2:3], s[4:5], 0x0
	v_add_co_u32_e32 v4, vcc, s12, v4
	v_addc_co_u32_e32 v5, vcc, v7, v5, vcc
	global_load_dwordx2 v[4:5], v[4:5], off
	v_lshlrev_b64 v[6:7], 3, v[0:1]
	v_sub_u32_e32 v0, v12, v3
	v_sub_u32_e32 v3, v12, v8
	v_add_u32_e32 v9, 1, v2
	v_cmp_le_u32_e32 vcc, s8, v3
	v_xor_b32_e32 v10, s0, v1
	v_subrev_u32_e32 v8, s11, v0
	v_cndmask_b32_e32 v2, v2, v9, vcc
	v_subrev_u32_e32 v9, s8, v3
	v_cmp_le_u32_e64 s[0:1], s11, v0
	s_waitcnt lgkmcnt(0)
	v_mov_b32_e32 v12, s3
	v_cndmask_b32_e64 v0, v0, v8, s[0:1]
	v_cndmask_b32_e32 v3, v3, v9, vcc
	v_add_co_u32_e32 v8, vcc, s2, v6
	v_addc_co_u32_e32 v9, vcc, v12, v7, vcc
	v_add_u32_e32 v13, 1, v2
	v_cmp_le_u32_e32 vcc, s8, v3
	v_subrev_u32_e32 v6, s11, v0
	v_cndmask_b32_e32 v2, v2, v13, vcc
	v_cmp_le_u32_e32 vcc, s11, v0
	v_cndmask_b32_e32 v0, v0, v6, vcc
	v_xor_b32_e32 v2, v2, v10
	s_mul_i32 s4, s10, s9
	v_xor_b32_e32 v3, v0, v1
	v_sub_u32_e32 v0, v2, v10
	v_mul_lo_u32 v0, s4, v0
	s_ashr_i32 s5, s9, 31
	v_sub_u32_e32 v1, v3, v1
	v_ashrrev_i32_e32 v2, 31, v1
	v_lshlrev_b64 v[2:3], 3, v[1:2]
	v_ashrrev_i32_e32 v1, 31, v0
	v_lshlrev_b64 v[0:1], 3, v[0:1]
	v_mov_b32_e32 v11, s7
	v_add_co_u32_e32 v10, vcc, s6, v0
	v_addc_co_u32_e32 v11, vcc, v11, v1, vcc
	s_waitcnt vmcnt(0)
	v_mul_lo_u32 v6, v4, s5
	v_mul_lo_u32 v7, v5, s9
	v_mad_u64_u32 v[4:5], s[0:1], v4, s9, 0
	s_mov_b64 s[0:1], 0
	v_add3_u32 v5, v5, v6, v7
	v_lshlrev_b64 v[0:1], 3, v[4:5]
	v_add_co_u32_e32 v0, vcc, v10, v0
	v_addc_co_u32_e32 v1, vcc, v11, v1, vcc
	v_add_co_u32_e32 v4, vcc, v0, v2
	v_addc_co_u32_e32 v5, vcc, v1, v3, vcc
	global_load_dwordx2 v[6:7], v[8:9], off
	global_load_dwordx2 v[2:3], v[4:5], off glc
.LBB7_11:                               ; =>This Inner Loop Header: Depth=1
	s_waitcnt vmcnt(0)
	v_add_co_u32_e32 v0, vcc, v2, v6
	v_addc_co_u32_e32 v1, vcc, v3, v7, vcc
	global_atomic_cmpswap_x2 v[0:1], v[4:5], v[0:3], off glc
	s_waitcnt vmcnt(0)
	v_cmp_eq_u64_e32 vcc, v[2:3], v[0:1]
	v_mov_b32_e32 v3, v1
	s_or_b64 s[0:1], vcc, s[0:1]
	v_mov_b32_e32 v2, v0
	s_andn2_b64 exec, exec, s[0:1]
	s_cbranch_execnz .LBB7_11
.LBB7_12:
	s_endpgm
	.section	.rodata,"a",@progbits
	.p2align	6, 0x0
	.amdhsa_kernel _Z14scatter_kernelIlL13ReductionType0EEvPKT_10TensorInfoIllEPS1_iiii
		.amdhsa_group_segment_fixed_size 0
		.amdhsa_private_segment_fixed_size 0
		.amdhsa_kernarg_size 704
		.amdhsa_user_sgpr_count 6
		.amdhsa_user_sgpr_private_segment_buffer 1
		.amdhsa_user_sgpr_dispatch_ptr 0
		.amdhsa_user_sgpr_queue_ptr 0
		.amdhsa_user_sgpr_kernarg_segment_ptr 1
		.amdhsa_user_sgpr_dispatch_id 0
		.amdhsa_user_sgpr_flat_scratch_init 0
		.amdhsa_user_sgpr_private_segment_size 0
		.amdhsa_uses_dynamic_stack 0
		.amdhsa_system_sgpr_private_segment_wavefront_offset 0
		.amdhsa_system_sgpr_workgroup_id_x 1
		.amdhsa_system_sgpr_workgroup_id_y 0
		.amdhsa_system_sgpr_workgroup_id_z 0
		.amdhsa_system_sgpr_workgroup_info 0
		.amdhsa_system_vgpr_workitem_id 0
		.amdhsa_next_free_vgpr 21
		.amdhsa_next_free_sgpr 29
		.amdhsa_reserve_vcc 1
		.amdhsa_reserve_flat_scratch 0
		.amdhsa_float_round_mode_32 0
		.amdhsa_float_round_mode_16_64 0
		.amdhsa_float_denorm_mode_32 3
		.amdhsa_float_denorm_mode_16_64 3
		.amdhsa_dx10_clamp 1
		.amdhsa_ieee_mode 1
		.amdhsa_fp16_overflow 0
		.amdhsa_exception_fp_ieee_invalid_op 0
		.amdhsa_exception_fp_denorm_src 0
		.amdhsa_exception_fp_ieee_div_zero 0
		.amdhsa_exception_fp_ieee_overflow 0
		.amdhsa_exception_fp_ieee_underflow 0
		.amdhsa_exception_fp_ieee_inexact 0
		.amdhsa_exception_int_div_zero 0
	.end_amdhsa_kernel
	.section	.text._Z14scatter_kernelIlL13ReductionType0EEvPKT_10TensorInfoIllEPS1_iiii,"axG",@progbits,_Z14scatter_kernelIlL13ReductionType0EEvPKT_10TensorInfoIllEPS1_iiii,comdat
.Lfunc_end7:
	.size	_Z14scatter_kernelIlL13ReductionType0EEvPKT_10TensorInfoIllEPS1_iiii, .Lfunc_end7-_Z14scatter_kernelIlL13ReductionType0EEvPKT_10TensorInfoIllEPS1_iiii
                                        ; -- End function
	.set _Z14scatter_kernelIlL13ReductionType0EEvPKT_10TensorInfoIllEPS1_iiii.num_vgpr, 21
	.set _Z14scatter_kernelIlL13ReductionType0EEvPKT_10TensorInfoIllEPS1_iiii.num_agpr, 0
	.set _Z14scatter_kernelIlL13ReductionType0EEvPKT_10TensorInfoIllEPS1_iiii.numbered_sgpr, 29
	.set _Z14scatter_kernelIlL13ReductionType0EEvPKT_10TensorInfoIllEPS1_iiii.num_named_barrier, 0
	.set _Z14scatter_kernelIlL13ReductionType0EEvPKT_10TensorInfoIllEPS1_iiii.private_seg_size, 0
	.set _Z14scatter_kernelIlL13ReductionType0EEvPKT_10TensorInfoIllEPS1_iiii.uses_vcc, 1
	.set _Z14scatter_kernelIlL13ReductionType0EEvPKT_10TensorInfoIllEPS1_iiii.uses_flat_scratch, 0
	.set _Z14scatter_kernelIlL13ReductionType0EEvPKT_10TensorInfoIllEPS1_iiii.has_dyn_sized_stack, 0
	.set _Z14scatter_kernelIlL13ReductionType0EEvPKT_10TensorInfoIllEPS1_iiii.has_recursion, 0
	.set _Z14scatter_kernelIlL13ReductionType0EEvPKT_10TensorInfoIllEPS1_iiii.has_indirect_call, 0
	.section	.AMDGPU.csdata,"",@progbits
; Kernel info:
; codeLenInByte = 1536
; TotalNumSgprs: 33
; NumVgprs: 21
; ScratchSize: 0
; MemoryBound: 0
; FloatMode: 240
; IeeeMode: 1
; LDSByteSize: 0 bytes/workgroup (compile time only)
; SGPRBlocks: 4
; VGPRBlocks: 5
; NumSGPRsForWavesPerEU: 33
; NumVGPRsForWavesPerEU: 21
; Occupancy: 10
; WaveLimiterHint : 1
; COMPUTE_PGM_RSRC2:SCRATCH_EN: 0
; COMPUTE_PGM_RSRC2:USER_SGPR: 6
; COMPUTE_PGM_RSRC2:TRAP_HANDLER: 0
; COMPUTE_PGM_RSRC2:TGID_X_EN: 1
; COMPUTE_PGM_RSRC2:TGID_Y_EN: 0
; COMPUTE_PGM_RSRC2:TGID_Z_EN: 0
; COMPUTE_PGM_RSRC2:TIDIG_COMP_CNT: 0
	.section	.text._Z14scatter_kernelIlL13ReductionType3EEvPKT_10TensorInfoIllEPS1_iiii,"axG",@progbits,_Z14scatter_kernelIlL13ReductionType3EEvPKT_10TensorInfoIllEPS1_iiii,comdat
	.protected	_Z14scatter_kernelIlL13ReductionType3EEvPKT_10TensorInfoIllEPS1_iiii ; -- Begin function _Z14scatter_kernelIlL13ReductionType3EEvPKT_10TensorInfoIllEPS1_iiii
	.globl	_Z14scatter_kernelIlL13ReductionType3EEvPKT_10TensorInfoIllEPS1_iiii
	.p2align	8
	.type	_Z14scatter_kernelIlL13ReductionType3EEvPKT_10TensorInfoIllEPS1_iiii,@function
_Z14scatter_kernelIlL13ReductionType3EEvPKT_10TensorInfoIllEPS1_iiii: ; @_Z14scatter_kernelIlL13ReductionType3EEvPKT_10TensorInfoIllEPS1_iiii
; %bb.0:
	s_load_dword s0, s[4:5], 0x1cc
	s_load_dwordx4 s[8:11], s[4:5], 0x1b0
	s_waitcnt lgkmcnt(0)
	s_and_b32 s0, s0, 0xffff
	s_mul_i32 s6, s6, s0
	v_add_u32_e32 v0, s6, v0
	v_cmp_gt_i32_e32 vcc, s11, v0
	s_and_saveexec_b64 s[0:1], vcc
	s_cbranch_execz .LBB8_12
; %bb.1:
	s_add_u32 s2, s4, 8
	s_addc_u32 s3, s5, 0
	s_abs_i32 s11, s9
	s_mul_i32 s20, s9, s8
	v_cvt_f32_u32_e32 v1, s11
	s_abs_i32 s8, s20
	v_cvt_f32_u32_e32 v2, s8
	s_sub_i32 s0, 0, s11
	v_rcp_iflag_f32_e32 v1, v1
	v_sub_u32_e32 v5, 0, v0
	v_rcp_iflag_f32_e32 v2, v2
	v_max_i32_e32 v12, v0, v5
	v_mul_f32_e32 v1, 0x4f7ffffe, v1
	v_cvt_u32_f32_e32 v1, v1
	v_mul_f32_e32 v2, 0x4f7ffffe, v2
	v_cvt_u32_f32_e32 v4, v2
	s_mov_b32 s1, 0
	v_mul_lo_u32 v2, s0, v1
	s_sub_i32 s0, 0, s8
	v_mul_lo_u32 v3, s0, v4
	s_load_dword s0, s[4:5], 0x1a0
	v_mul_hi_u32 v2, v1, v2
	v_mul_hi_u32 v5, v4, v3
	v_add_u32_e32 v1, v1, v2
	v_mad_u64_u32 v[2:3], s[6:7], v12, v1, 0
	v_add_u32_e32 v1, v4, v5
	v_mad_u64_u32 v[1:2], s[6:7], v12, v1, 0
	v_mov_b32_e32 v4, 0
	s_waitcnt lgkmcnt(0)
	s_cmp_lt_i32 s0, 2
	v_ashrrev_i32_e32 v1, 31, v0
	v_mov_b32_e32 v5, 0
	s_cbranch_scc1 .LBB8_9
; %bb.2:
	s_add_i32 s21, s0, 1
	s_add_i32 s0, s0, -1
	s_lshl_b64 s[0:1], s[0:1], 3
	s_add_u32 s0, s2, s0
	s_addc_u32 s1, s3, s1
	s_add_u32 s6, s0, 8
	v_mov_b32_e32 v4, 0
	v_mov_b32_e32 v9, v1
	s_addc_u32 s7, s1, 0
	v_mov_b32_e32 v5, 0
	v_mov_b32_e32 v6, 0
	;; [unrolled: 1-line block ×3, first 2 shown]
.LBB8_3:                                ; =>This Inner Loop Header: Depth=1
	s_load_dwordx2 s[12:13], s[6:7], 0x0
                                        ; implicit-def: $vgpr10_vgpr11
	s_waitcnt lgkmcnt(0)
	v_or_b32_e32 v7, s13, v9
	v_cmp_ne_u64_e32 vcc, 0, v[6:7]
	s_and_saveexec_b64 s[0:1], vcc
	s_xor_b64 s[14:15], exec, s[0:1]
	s_cbranch_execz .LBB8_5
; %bb.4:                                ;   in Loop: Header=BB8_3 Depth=1
	s_ashr_i32 s16, s13, 31
	s_add_u32 s0, s12, s16
	s_mov_b32 s17, s16
	s_addc_u32 s1, s13, s16
	s_xor_b64 s[18:19], s[0:1], s[16:17]
	v_cvt_f32_u32_e32 v7, s18
	v_cvt_f32_u32_e32 v10, s19
	s_sub_u32 s17, 0, s18
	s_subb_u32 s22, 0, s19
	v_mac_f32_e32 v7, 0x4f800000, v10
	v_rcp_f32_e32 v7, v7
	v_mul_f32_e32 v7, 0x5f7ffffc, v7
	v_mul_f32_e32 v10, 0x2f800000, v7
	v_trunc_f32_e32 v10, v10
	v_mac_f32_e32 v7, 0xcf800000, v10
	v_cvt_u32_f32_e32 v10, v10
	v_cvt_u32_f32_e32 v7, v7
	v_readfirstlane_b32 s23, v10
	v_readfirstlane_b32 s0, v7
	s_mul_i32 s1, s17, s23
	s_mul_hi_u32 s25, s17, s0
	s_mul_i32 s24, s22, s0
	s_add_i32 s1, s25, s1
	s_add_i32 s1, s1, s24
	s_mul_i32 s26, s17, s0
	s_mul_i32 s25, s0, s1
	s_mul_hi_u32 s27, s0, s26
	s_mul_hi_u32 s24, s0, s1
	s_add_u32 s25, s27, s25
	s_addc_u32 s24, 0, s24
	s_mul_hi_u32 s28, s23, s26
	s_mul_i32 s26, s23, s26
	s_add_u32 s25, s25, s26
	s_mul_hi_u32 s27, s23, s1
	s_addc_u32 s24, s24, s28
	s_addc_u32 s25, s27, 0
	s_mul_i32 s1, s23, s1
	s_add_u32 s1, s24, s1
	s_addc_u32 s24, 0, s25
	s_add_u32 s25, s0, s1
	s_cselect_b64 s[0:1], -1, 0
	s_cmp_lg_u64 s[0:1], 0
	s_addc_u32 s23, s23, s24
	s_mul_i32 s0, s17, s23
	s_mul_hi_u32 s1, s17, s25
	s_add_i32 s0, s1, s0
	s_mul_i32 s22, s22, s25
	s_add_i32 s0, s0, s22
	s_mul_i32 s17, s17, s25
	s_mul_hi_u32 s22, s23, s17
	s_mul_i32 s24, s23, s17
	s_mul_i32 s27, s25, s0
	s_mul_hi_u32 s17, s25, s17
	s_mul_hi_u32 s26, s25, s0
	s_add_u32 s17, s17, s27
	s_addc_u32 s26, 0, s26
	s_add_u32 s17, s17, s24
	s_mul_hi_u32 s1, s23, s0
	s_addc_u32 s17, s26, s22
	s_addc_u32 s1, s1, 0
	s_mul_i32 s0, s23, s0
	s_add_u32 s0, s17, s0
	s_addc_u32 s17, 0, s1
	s_add_u32 s22, s25, s0
	s_cselect_b64 s[0:1], -1, 0
	v_ashrrev_i32_e32 v7, 31, v9
	s_cmp_lg_u64 s[0:1], 0
	v_add_co_u32_e32 v10, vcc, v8, v7
	s_addc_u32 s17, s23, s17
	v_xor_b32_e32 v15, v10, v7
	v_mad_u64_u32 v[10:11], s[0:1], v15, s17, 0
	v_mul_hi_u32 v14, v15, s22
	v_addc_co_u32_e32 v13, vcc, v9, v7, vcc
	v_xor_b32_e32 v16, v13, v7
	v_add_co_u32_e32 v17, vcc, v14, v10
	v_addc_co_u32_e32 v18, vcc, 0, v11, vcc
	v_mad_u64_u32 v[10:11], s[0:1], v16, s22, 0
	v_mad_u64_u32 v[13:14], s[0:1], v16, s17, 0
	v_add_co_u32_e32 v10, vcc, v17, v10
	v_addc_co_u32_e32 v10, vcc, v18, v11, vcc
	v_addc_co_u32_e32 v11, vcc, 0, v14, vcc
	v_add_co_u32_e32 v13, vcc, v10, v13
	v_addc_co_u32_e32 v14, vcc, 0, v11, vcc
	v_mul_lo_u32 v17, s19, v13
	v_mul_lo_u32 v18, s18, v14
	v_mad_u64_u32 v[10:11], s[0:1], s18, v13, 0
	v_xor_b32_e32 v7, s16, v7
	v_add3_u32 v11, v11, v18, v17
	v_sub_u32_e32 v17, v16, v11
	v_mov_b32_e32 v18, s19
	v_sub_co_u32_e32 v10, vcc, v15, v10
	v_subb_co_u32_e64 v15, s[0:1], v17, v18, vcc
	v_subrev_co_u32_e64 v17, s[0:1], s18, v10
	v_subbrev_co_u32_e64 v15, s[0:1], 0, v15, s[0:1]
	v_cmp_le_u32_e64 s[0:1], s19, v15
	v_cndmask_b32_e64 v18, 0, -1, s[0:1]
	v_cmp_le_u32_e64 s[0:1], s18, v17
	v_cndmask_b32_e64 v17, 0, -1, s[0:1]
	v_cmp_eq_u32_e64 s[0:1], s19, v15
	v_cndmask_b32_e64 v15, v18, v17, s[0:1]
	v_add_co_u32_e64 v17, s[0:1], 2, v13
	v_subb_co_u32_e32 v11, vcc, v16, v11, vcc
	v_addc_co_u32_e64 v18, s[0:1], 0, v14, s[0:1]
	v_cmp_le_u32_e32 vcc, s19, v11
	v_add_co_u32_e64 v19, s[0:1], 1, v13
	v_cndmask_b32_e64 v16, 0, -1, vcc
	v_cmp_le_u32_e32 vcc, s18, v10
	v_addc_co_u32_e64 v20, s[0:1], 0, v14, s[0:1]
	v_cndmask_b32_e64 v10, 0, -1, vcc
	v_cmp_eq_u32_e32 vcc, s19, v11
	v_cmp_ne_u32_e64 s[0:1], 0, v15
	v_cndmask_b32_e32 v10, v16, v10, vcc
	v_cndmask_b32_e64 v15, v20, v18, s[0:1]
	v_cmp_ne_u32_e32 vcc, 0, v10
	v_cndmask_b32_e64 v11, v19, v17, s[0:1]
	v_cndmask_b32_e32 v10, v14, v15, vcc
	v_cndmask_b32_e32 v11, v13, v11, vcc
	v_xor_b32_e32 v13, v10, v7
	v_xor_b32_e32 v10, v11, v7
	v_sub_co_u32_e32 v10, vcc, v10, v7
	v_subb_co_u32_e32 v11, vcc, v13, v7, vcc
.LBB8_5:                                ;   in Loop: Header=BB8_3 Depth=1
	s_andn2_saveexec_b64 s[0:1], s[14:15]
	s_cbranch_execz .LBB8_7
; %bb.6:                                ;   in Loop: Header=BB8_3 Depth=1
	v_cvt_f32_u32_e32 v7, s12
	s_sub_i32 s14, 0, s12
	v_rcp_iflag_f32_e32 v7, v7
	v_mul_f32_e32 v7, 0x4f7ffffe, v7
	v_cvt_u32_f32_e32 v7, v7
	v_mul_lo_u32 v10, s14, v7
	v_mul_hi_u32 v10, v7, v10
	v_add_u32_e32 v7, v7, v10
	v_mul_hi_u32 v7, v8, v7
	v_mul_lo_u32 v10, v7, s12
	v_add_u32_e32 v11, 1, v7
	v_sub_u32_e32 v10, v8, v10
	v_subrev_u32_e32 v13, s12, v10
	v_cmp_le_u32_e32 vcc, s12, v10
	v_cndmask_b32_e32 v10, v10, v13, vcc
	v_cndmask_b32_e32 v7, v7, v11, vcc
	v_add_u32_e32 v11, 1, v7
	v_cmp_le_u32_e32 vcc, s12, v10
	v_cndmask_b32_e32 v10, v7, v11, vcc
	v_mov_b32_e32 v11, v6
.LBB8_7:                                ;   in Loop: Header=BB8_3 Depth=1
	s_or_b64 exec, exec, s[0:1]
	v_mul_lo_u32 v7, v11, s12
	v_mul_lo_u32 v15, v10, s13
	v_mad_u64_u32 v[13:14], s[0:1], v10, s12, 0
	s_load_dwordx2 s[0:1], s[6:7], 0xc8
	s_add_i32 s21, s21, -1
	v_add3_u32 v7, v14, v15, v7
	v_sub_co_u32_e32 v8, vcc, v8, v13
	v_subb_co_u32_e32 v7, vcc, v9, v7, vcc
	s_waitcnt lgkmcnt(0)
	v_mul_lo_u32 v7, s0, v7
	v_mul_lo_u32 v9, s1, v8
	v_mad_u64_u32 v[4:5], s[0:1], s0, v8, v[4:5]
	s_add_u32 s6, s6, -8
	s_addc_u32 s7, s7, -1
	s_cmp_gt_u32 s21, 2
	v_add3_u32 v5, v9, v5, v7
	s_cbranch_scc0 .LBB8_10
; %bb.8:                                ;   in Loop: Header=BB8_3 Depth=1
	v_mov_b32_e32 v8, v10
	v_mov_b32_e32 v9, v11
	s_branch .LBB8_3
.LBB8_9:
	v_mov_b32_e32 v11, v1
	v_mov_b32_e32 v10, v0
.LBB8_10:
	s_load_dwordx2 s[6:7], s[4:5], 0x1a8
	s_load_dword s1, s[2:3], 0xd0
	s_load_dwordx2 s[12:13], s[2:3], 0x0
	v_mul_lo_u32 v3, v3, s11
	v_mul_lo_u32 v8, v2, s8
	s_ashr_i32 s0, s20, 31
	s_waitcnt lgkmcnt(0)
	v_mad_u64_u32 v[4:5], s[2:3], s1, v10, v[4:5]
	v_mov_b32_e32 v5, 0
	v_mov_b32_e32 v7, s13
	;; [unrolled: 1-line block ×3, first 2 shown]
	v_ashrrev_i64 v[4:5], 29, v[5:6]
	s_load_dwordx2 s[2:3], s[4:5], 0x0
	v_add_co_u32_e32 v4, vcc, s12, v4
	v_addc_co_u32_e32 v5, vcc, v7, v5, vcc
	global_load_dwordx2 v[4:5], v[4:5], off
	v_lshlrev_b64 v[6:7], 3, v[0:1]
	v_sub_u32_e32 v0, v12, v3
	v_sub_u32_e32 v3, v12, v8
	v_add_u32_e32 v9, 1, v2
	v_cmp_le_u32_e32 vcc, s8, v3
	v_xor_b32_e32 v10, s0, v1
	v_subrev_u32_e32 v8, s11, v0
	v_cndmask_b32_e32 v2, v2, v9, vcc
	v_subrev_u32_e32 v9, s8, v3
	v_cmp_le_u32_e64 s[0:1], s11, v0
	s_waitcnt lgkmcnt(0)
	v_mov_b32_e32 v12, s3
	v_cndmask_b32_e64 v0, v0, v8, s[0:1]
	v_cndmask_b32_e32 v3, v3, v9, vcc
	v_add_co_u32_e32 v8, vcc, s2, v6
	v_addc_co_u32_e32 v9, vcc, v12, v7, vcc
	v_add_u32_e32 v13, 1, v2
	v_cmp_le_u32_e32 vcc, s8, v3
	v_subrev_u32_e32 v6, s11, v0
	v_cndmask_b32_e32 v2, v2, v13, vcc
	v_cmp_le_u32_e32 vcc, s11, v0
	v_cndmask_b32_e32 v0, v0, v6, vcc
	v_xor_b32_e32 v2, v2, v10
	s_mul_i32 s4, s10, s9
	v_xor_b32_e32 v3, v0, v1
	v_sub_u32_e32 v0, v2, v10
	v_mul_lo_u32 v0, s4, v0
	s_ashr_i32 s5, s9, 31
	v_sub_u32_e32 v1, v3, v1
	v_ashrrev_i32_e32 v2, 31, v1
	v_lshlrev_b64 v[2:3], 3, v[1:2]
	v_ashrrev_i32_e32 v1, 31, v0
	v_lshlrev_b64 v[0:1], 3, v[0:1]
	v_mov_b32_e32 v11, s7
	v_add_co_u32_e32 v10, vcc, s6, v0
	v_addc_co_u32_e32 v11, vcc, v11, v1, vcc
	s_waitcnt vmcnt(0)
	v_mul_lo_u32 v6, v4, s5
	v_mul_lo_u32 v7, v5, s9
	v_mad_u64_u32 v[4:5], s[0:1], v4, s9, 0
	s_mov_b64 s[0:1], 0
	v_add3_u32 v5, v5, v6, v7
	v_lshlrev_b64 v[0:1], 3, v[4:5]
	v_add_co_u32_e32 v0, vcc, v10, v0
	v_addc_co_u32_e32 v1, vcc, v11, v1, vcc
	v_add_co_u32_e32 v4, vcc, v0, v2
	v_addc_co_u32_e32 v5, vcc, v1, v3, vcc
	global_load_dwordx2 v[6:7], v[8:9], off
	global_load_dwordx2 v[2:3], v[4:5], off glc
.LBB8_11:                               ; =>This Inner Loop Header: Depth=1
	s_waitcnt vmcnt(0)
	v_cmp_lt_i64_e32 vcc, v[2:3], v[6:7]
	v_cndmask_b32_e32 v1, v7, v3, vcc
	v_cndmask_b32_e32 v0, v6, v2, vcc
	global_atomic_cmpswap_x2 v[0:1], v[4:5], v[0:3], off glc
	s_waitcnt vmcnt(0)
	v_cmp_eq_u64_e32 vcc, v[2:3], v[0:1]
	v_mov_b32_e32 v3, v1
	s_or_b64 s[0:1], vcc, s[0:1]
	v_mov_b32_e32 v2, v0
	s_andn2_b64 exec, exec, s[0:1]
	s_cbranch_execnz .LBB8_11
.LBB8_12:
	s_endpgm
	.section	.rodata,"a",@progbits
	.p2align	6, 0x0
	.amdhsa_kernel _Z14scatter_kernelIlL13ReductionType3EEvPKT_10TensorInfoIllEPS1_iiii
		.amdhsa_group_segment_fixed_size 0
		.amdhsa_private_segment_fixed_size 0
		.amdhsa_kernarg_size 704
		.amdhsa_user_sgpr_count 6
		.amdhsa_user_sgpr_private_segment_buffer 1
		.amdhsa_user_sgpr_dispatch_ptr 0
		.amdhsa_user_sgpr_queue_ptr 0
		.amdhsa_user_sgpr_kernarg_segment_ptr 1
		.amdhsa_user_sgpr_dispatch_id 0
		.amdhsa_user_sgpr_flat_scratch_init 0
		.amdhsa_user_sgpr_private_segment_size 0
		.amdhsa_uses_dynamic_stack 0
		.amdhsa_system_sgpr_private_segment_wavefront_offset 0
		.amdhsa_system_sgpr_workgroup_id_x 1
		.amdhsa_system_sgpr_workgroup_id_y 0
		.amdhsa_system_sgpr_workgroup_id_z 0
		.amdhsa_system_sgpr_workgroup_info 0
		.amdhsa_system_vgpr_workitem_id 0
		.amdhsa_next_free_vgpr 21
		.amdhsa_next_free_sgpr 29
		.amdhsa_reserve_vcc 1
		.amdhsa_reserve_flat_scratch 0
		.amdhsa_float_round_mode_32 0
		.amdhsa_float_round_mode_16_64 0
		.amdhsa_float_denorm_mode_32 3
		.amdhsa_float_denorm_mode_16_64 3
		.amdhsa_dx10_clamp 1
		.amdhsa_ieee_mode 1
		.amdhsa_fp16_overflow 0
		.amdhsa_exception_fp_ieee_invalid_op 0
		.amdhsa_exception_fp_denorm_src 0
		.amdhsa_exception_fp_ieee_div_zero 0
		.amdhsa_exception_fp_ieee_overflow 0
		.amdhsa_exception_fp_ieee_underflow 0
		.amdhsa_exception_fp_ieee_inexact 0
		.amdhsa_exception_int_div_zero 0
	.end_amdhsa_kernel
	.section	.text._Z14scatter_kernelIlL13ReductionType3EEvPKT_10TensorInfoIllEPS1_iiii,"axG",@progbits,_Z14scatter_kernelIlL13ReductionType3EEvPKT_10TensorInfoIllEPS1_iiii,comdat
.Lfunc_end8:
	.size	_Z14scatter_kernelIlL13ReductionType3EEvPKT_10TensorInfoIllEPS1_iiii, .Lfunc_end8-_Z14scatter_kernelIlL13ReductionType3EEvPKT_10TensorInfoIllEPS1_iiii
                                        ; -- End function
	.set _Z14scatter_kernelIlL13ReductionType3EEvPKT_10TensorInfoIllEPS1_iiii.num_vgpr, 21
	.set _Z14scatter_kernelIlL13ReductionType3EEvPKT_10TensorInfoIllEPS1_iiii.num_agpr, 0
	.set _Z14scatter_kernelIlL13ReductionType3EEvPKT_10TensorInfoIllEPS1_iiii.numbered_sgpr, 29
	.set _Z14scatter_kernelIlL13ReductionType3EEvPKT_10TensorInfoIllEPS1_iiii.num_named_barrier, 0
	.set _Z14scatter_kernelIlL13ReductionType3EEvPKT_10TensorInfoIllEPS1_iiii.private_seg_size, 0
	.set _Z14scatter_kernelIlL13ReductionType3EEvPKT_10TensorInfoIllEPS1_iiii.uses_vcc, 1
	.set _Z14scatter_kernelIlL13ReductionType3EEvPKT_10TensorInfoIllEPS1_iiii.uses_flat_scratch, 0
	.set _Z14scatter_kernelIlL13ReductionType3EEvPKT_10TensorInfoIllEPS1_iiii.has_dyn_sized_stack, 0
	.set _Z14scatter_kernelIlL13ReductionType3EEvPKT_10TensorInfoIllEPS1_iiii.has_recursion, 0
	.set _Z14scatter_kernelIlL13ReductionType3EEvPKT_10TensorInfoIllEPS1_iiii.has_indirect_call, 0
	.section	.AMDGPU.csdata,"",@progbits
; Kernel info:
; codeLenInByte = 1540
; TotalNumSgprs: 33
; NumVgprs: 21
; ScratchSize: 0
; MemoryBound: 0
; FloatMode: 240
; IeeeMode: 1
; LDSByteSize: 0 bytes/workgroup (compile time only)
; SGPRBlocks: 4
; VGPRBlocks: 5
; NumSGPRsForWavesPerEU: 33
; NumVGPRsForWavesPerEU: 21
; Occupancy: 10
; WaveLimiterHint : 1
; COMPUTE_PGM_RSRC2:SCRATCH_EN: 0
; COMPUTE_PGM_RSRC2:USER_SGPR: 6
; COMPUTE_PGM_RSRC2:TRAP_HANDLER: 0
; COMPUTE_PGM_RSRC2:TGID_X_EN: 1
; COMPUTE_PGM_RSRC2:TGID_Y_EN: 0
; COMPUTE_PGM_RSRC2:TGID_Z_EN: 0
; COMPUTE_PGM_RSRC2:TIDIG_COMP_CNT: 0
	.section	.text._Z14scatter_kernelIlL13ReductionType4EEvPKT_10TensorInfoIllEPS1_iiii,"axG",@progbits,_Z14scatter_kernelIlL13ReductionType4EEvPKT_10TensorInfoIllEPS1_iiii,comdat
	.protected	_Z14scatter_kernelIlL13ReductionType4EEvPKT_10TensorInfoIllEPS1_iiii ; -- Begin function _Z14scatter_kernelIlL13ReductionType4EEvPKT_10TensorInfoIllEPS1_iiii
	.globl	_Z14scatter_kernelIlL13ReductionType4EEvPKT_10TensorInfoIllEPS1_iiii
	.p2align	8
	.type	_Z14scatter_kernelIlL13ReductionType4EEvPKT_10TensorInfoIllEPS1_iiii,@function
_Z14scatter_kernelIlL13ReductionType4EEvPKT_10TensorInfoIllEPS1_iiii: ; @_Z14scatter_kernelIlL13ReductionType4EEvPKT_10TensorInfoIllEPS1_iiii
; %bb.0:
	s_load_dword s0, s[4:5], 0x1cc
	s_load_dwordx4 s[8:11], s[4:5], 0x1b0
	s_waitcnt lgkmcnt(0)
	s_and_b32 s0, s0, 0xffff
	s_mul_i32 s6, s6, s0
	v_add_u32_e32 v0, s6, v0
	v_cmp_gt_i32_e32 vcc, s11, v0
	s_and_saveexec_b64 s[0:1], vcc
	s_cbranch_execz .LBB9_12
; %bb.1:
	s_add_u32 s2, s4, 8
	s_addc_u32 s3, s5, 0
	s_abs_i32 s11, s9
	s_mul_i32 s20, s9, s8
	v_cvt_f32_u32_e32 v1, s11
	s_abs_i32 s8, s20
	v_cvt_f32_u32_e32 v2, s8
	s_sub_i32 s0, 0, s11
	v_rcp_iflag_f32_e32 v1, v1
	v_sub_u32_e32 v5, 0, v0
	v_rcp_iflag_f32_e32 v2, v2
	v_max_i32_e32 v12, v0, v5
	v_mul_f32_e32 v1, 0x4f7ffffe, v1
	v_cvt_u32_f32_e32 v1, v1
	v_mul_f32_e32 v2, 0x4f7ffffe, v2
	v_cvt_u32_f32_e32 v4, v2
	s_mov_b32 s1, 0
	v_mul_lo_u32 v2, s0, v1
	s_sub_i32 s0, 0, s8
	v_mul_lo_u32 v3, s0, v4
	s_load_dword s0, s[4:5], 0x1a0
	v_mul_hi_u32 v2, v1, v2
	v_mul_hi_u32 v5, v4, v3
	v_add_u32_e32 v1, v1, v2
	v_mad_u64_u32 v[2:3], s[6:7], v12, v1, 0
	v_add_u32_e32 v1, v4, v5
	v_mad_u64_u32 v[1:2], s[6:7], v12, v1, 0
	v_mov_b32_e32 v4, 0
	s_waitcnt lgkmcnt(0)
	s_cmp_lt_i32 s0, 2
	v_ashrrev_i32_e32 v1, 31, v0
	v_mov_b32_e32 v5, 0
	s_cbranch_scc1 .LBB9_9
; %bb.2:
	s_add_i32 s21, s0, 1
	s_add_i32 s0, s0, -1
	s_lshl_b64 s[0:1], s[0:1], 3
	s_add_u32 s0, s2, s0
	s_addc_u32 s1, s3, s1
	s_add_u32 s6, s0, 8
	v_mov_b32_e32 v4, 0
	v_mov_b32_e32 v9, v1
	s_addc_u32 s7, s1, 0
	v_mov_b32_e32 v5, 0
	v_mov_b32_e32 v6, 0
	;; [unrolled: 1-line block ×3, first 2 shown]
.LBB9_3:                                ; =>This Inner Loop Header: Depth=1
	s_load_dwordx2 s[12:13], s[6:7], 0x0
                                        ; implicit-def: $vgpr10_vgpr11
	s_waitcnt lgkmcnt(0)
	v_or_b32_e32 v7, s13, v9
	v_cmp_ne_u64_e32 vcc, 0, v[6:7]
	s_and_saveexec_b64 s[0:1], vcc
	s_xor_b64 s[14:15], exec, s[0:1]
	s_cbranch_execz .LBB9_5
; %bb.4:                                ;   in Loop: Header=BB9_3 Depth=1
	s_ashr_i32 s16, s13, 31
	s_add_u32 s0, s12, s16
	s_mov_b32 s17, s16
	s_addc_u32 s1, s13, s16
	s_xor_b64 s[18:19], s[0:1], s[16:17]
	v_cvt_f32_u32_e32 v7, s18
	v_cvt_f32_u32_e32 v10, s19
	s_sub_u32 s17, 0, s18
	s_subb_u32 s22, 0, s19
	v_mac_f32_e32 v7, 0x4f800000, v10
	v_rcp_f32_e32 v7, v7
	v_mul_f32_e32 v7, 0x5f7ffffc, v7
	v_mul_f32_e32 v10, 0x2f800000, v7
	v_trunc_f32_e32 v10, v10
	v_mac_f32_e32 v7, 0xcf800000, v10
	v_cvt_u32_f32_e32 v10, v10
	v_cvt_u32_f32_e32 v7, v7
	v_readfirstlane_b32 s23, v10
	v_readfirstlane_b32 s0, v7
	s_mul_i32 s1, s17, s23
	s_mul_hi_u32 s25, s17, s0
	s_mul_i32 s24, s22, s0
	s_add_i32 s1, s25, s1
	s_add_i32 s1, s1, s24
	s_mul_i32 s26, s17, s0
	s_mul_i32 s25, s0, s1
	s_mul_hi_u32 s27, s0, s26
	s_mul_hi_u32 s24, s0, s1
	s_add_u32 s25, s27, s25
	s_addc_u32 s24, 0, s24
	s_mul_hi_u32 s28, s23, s26
	s_mul_i32 s26, s23, s26
	s_add_u32 s25, s25, s26
	s_mul_hi_u32 s27, s23, s1
	s_addc_u32 s24, s24, s28
	s_addc_u32 s25, s27, 0
	s_mul_i32 s1, s23, s1
	s_add_u32 s1, s24, s1
	s_addc_u32 s24, 0, s25
	s_add_u32 s25, s0, s1
	s_cselect_b64 s[0:1], -1, 0
	s_cmp_lg_u64 s[0:1], 0
	s_addc_u32 s23, s23, s24
	s_mul_i32 s0, s17, s23
	s_mul_hi_u32 s1, s17, s25
	s_add_i32 s0, s1, s0
	s_mul_i32 s22, s22, s25
	s_add_i32 s0, s0, s22
	s_mul_i32 s17, s17, s25
	s_mul_hi_u32 s22, s23, s17
	s_mul_i32 s24, s23, s17
	s_mul_i32 s27, s25, s0
	s_mul_hi_u32 s17, s25, s17
	s_mul_hi_u32 s26, s25, s0
	s_add_u32 s17, s17, s27
	s_addc_u32 s26, 0, s26
	s_add_u32 s17, s17, s24
	s_mul_hi_u32 s1, s23, s0
	s_addc_u32 s17, s26, s22
	s_addc_u32 s1, s1, 0
	s_mul_i32 s0, s23, s0
	s_add_u32 s0, s17, s0
	s_addc_u32 s17, 0, s1
	s_add_u32 s22, s25, s0
	s_cselect_b64 s[0:1], -1, 0
	v_ashrrev_i32_e32 v7, 31, v9
	s_cmp_lg_u64 s[0:1], 0
	v_add_co_u32_e32 v10, vcc, v8, v7
	s_addc_u32 s17, s23, s17
	v_xor_b32_e32 v15, v10, v7
	v_mad_u64_u32 v[10:11], s[0:1], v15, s17, 0
	v_mul_hi_u32 v14, v15, s22
	v_addc_co_u32_e32 v13, vcc, v9, v7, vcc
	v_xor_b32_e32 v16, v13, v7
	v_add_co_u32_e32 v17, vcc, v14, v10
	v_addc_co_u32_e32 v18, vcc, 0, v11, vcc
	v_mad_u64_u32 v[10:11], s[0:1], v16, s22, 0
	v_mad_u64_u32 v[13:14], s[0:1], v16, s17, 0
	v_add_co_u32_e32 v10, vcc, v17, v10
	v_addc_co_u32_e32 v10, vcc, v18, v11, vcc
	v_addc_co_u32_e32 v11, vcc, 0, v14, vcc
	v_add_co_u32_e32 v13, vcc, v10, v13
	v_addc_co_u32_e32 v14, vcc, 0, v11, vcc
	v_mul_lo_u32 v17, s19, v13
	v_mul_lo_u32 v18, s18, v14
	v_mad_u64_u32 v[10:11], s[0:1], s18, v13, 0
	v_xor_b32_e32 v7, s16, v7
	v_add3_u32 v11, v11, v18, v17
	v_sub_u32_e32 v17, v16, v11
	v_mov_b32_e32 v18, s19
	v_sub_co_u32_e32 v10, vcc, v15, v10
	v_subb_co_u32_e64 v15, s[0:1], v17, v18, vcc
	v_subrev_co_u32_e64 v17, s[0:1], s18, v10
	v_subbrev_co_u32_e64 v15, s[0:1], 0, v15, s[0:1]
	v_cmp_le_u32_e64 s[0:1], s19, v15
	v_cndmask_b32_e64 v18, 0, -1, s[0:1]
	v_cmp_le_u32_e64 s[0:1], s18, v17
	v_cndmask_b32_e64 v17, 0, -1, s[0:1]
	v_cmp_eq_u32_e64 s[0:1], s19, v15
	v_cndmask_b32_e64 v15, v18, v17, s[0:1]
	v_add_co_u32_e64 v17, s[0:1], 2, v13
	v_subb_co_u32_e32 v11, vcc, v16, v11, vcc
	v_addc_co_u32_e64 v18, s[0:1], 0, v14, s[0:1]
	v_cmp_le_u32_e32 vcc, s19, v11
	v_add_co_u32_e64 v19, s[0:1], 1, v13
	v_cndmask_b32_e64 v16, 0, -1, vcc
	v_cmp_le_u32_e32 vcc, s18, v10
	v_addc_co_u32_e64 v20, s[0:1], 0, v14, s[0:1]
	v_cndmask_b32_e64 v10, 0, -1, vcc
	v_cmp_eq_u32_e32 vcc, s19, v11
	v_cmp_ne_u32_e64 s[0:1], 0, v15
	v_cndmask_b32_e32 v10, v16, v10, vcc
	v_cndmask_b32_e64 v15, v20, v18, s[0:1]
	v_cmp_ne_u32_e32 vcc, 0, v10
	v_cndmask_b32_e64 v11, v19, v17, s[0:1]
	v_cndmask_b32_e32 v10, v14, v15, vcc
	v_cndmask_b32_e32 v11, v13, v11, vcc
	v_xor_b32_e32 v13, v10, v7
	v_xor_b32_e32 v10, v11, v7
	v_sub_co_u32_e32 v10, vcc, v10, v7
	v_subb_co_u32_e32 v11, vcc, v13, v7, vcc
.LBB9_5:                                ;   in Loop: Header=BB9_3 Depth=1
	s_andn2_saveexec_b64 s[0:1], s[14:15]
	s_cbranch_execz .LBB9_7
; %bb.6:                                ;   in Loop: Header=BB9_3 Depth=1
	v_cvt_f32_u32_e32 v7, s12
	s_sub_i32 s14, 0, s12
	v_rcp_iflag_f32_e32 v7, v7
	v_mul_f32_e32 v7, 0x4f7ffffe, v7
	v_cvt_u32_f32_e32 v7, v7
	v_mul_lo_u32 v10, s14, v7
	v_mul_hi_u32 v10, v7, v10
	v_add_u32_e32 v7, v7, v10
	v_mul_hi_u32 v7, v8, v7
	v_mul_lo_u32 v10, v7, s12
	v_add_u32_e32 v11, 1, v7
	v_sub_u32_e32 v10, v8, v10
	v_subrev_u32_e32 v13, s12, v10
	v_cmp_le_u32_e32 vcc, s12, v10
	v_cndmask_b32_e32 v10, v10, v13, vcc
	v_cndmask_b32_e32 v7, v7, v11, vcc
	v_add_u32_e32 v11, 1, v7
	v_cmp_le_u32_e32 vcc, s12, v10
	v_cndmask_b32_e32 v10, v7, v11, vcc
	v_mov_b32_e32 v11, v6
.LBB9_7:                                ;   in Loop: Header=BB9_3 Depth=1
	s_or_b64 exec, exec, s[0:1]
	v_mul_lo_u32 v7, v11, s12
	v_mul_lo_u32 v15, v10, s13
	v_mad_u64_u32 v[13:14], s[0:1], v10, s12, 0
	s_load_dwordx2 s[0:1], s[6:7], 0xc8
	s_add_i32 s21, s21, -1
	v_add3_u32 v7, v14, v15, v7
	v_sub_co_u32_e32 v8, vcc, v8, v13
	v_subb_co_u32_e32 v7, vcc, v9, v7, vcc
	s_waitcnt lgkmcnt(0)
	v_mul_lo_u32 v7, s0, v7
	v_mul_lo_u32 v9, s1, v8
	v_mad_u64_u32 v[4:5], s[0:1], s0, v8, v[4:5]
	s_add_u32 s6, s6, -8
	s_addc_u32 s7, s7, -1
	s_cmp_gt_u32 s21, 2
	v_add3_u32 v5, v9, v5, v7
	s_cbranch_scc0 .LBB9_10
; %bb.8:                                ;   in Loop: Header=BB9_3 Depth=1
	v_mov_b32_e32 v8, v10
	v_mov_b32_e32 v9, v11
	s_branch .LBB9_3
.LBB9_9:
	v_mov_b32_e32 v11, v1
	v_mov_b32_e32 v10, v0
.LBB9_10:
	s_load_dwordx2 s[6:7], s[4:5], 0x1a8
	s_load_dword s1, s[2:3], 0xd0
	s_load_dwordx2 s[12:13], s[2:3], 0x0
	v_mul_lo_u32 v3, v3, s11
	v_mul_lo_u32 v8, v2, s8
	s_ashr_i32 s0, s20, 31
	s_waitcnt lgkmcnt(0)
	v_mad_u64_u32 v[4:5], s[2:3], s1, v10, v[4:5]
	v_mov_b32_e32 v5, 0
	v_mov_b32_e32 v7, s13
	;; [unrolled: 1-line block ×3, first 2 shown]
	v_ashrrev_i64 v[4:5], 29, v[5:6]
	s_load_dwordx2 s[2:3], s[4:5], 0x0
	v_add_co_u32_e32 v4, vcc, s12, v4
	v_addc_co_u32_e32 v5, vcc, v7, v5, vcc
	global_load_dwordx2 v[4:5], v[4:5], off
	v_lshlrev_b64 v[6:7], 3, v[0:1]
	v_sub_u32_e32 v0, v12, v3
	v_sub_u32_e32 v3, v12, v8
	v_add_u32_e32 v9, 1, v2
	v_cmp_le_u32_e32 vcc, s8, v3
	v_xor_b32_e32 v10, s0, v1
	v_subrev_u32_e32 v8, s11, v0
	v_cndmask_b32_e32 v2, v2, v9, vcc
	v_subrev_u32_e32 v9, s8, v3
	v_cmp_le_u32_e64 s[0:1], s11, v0
	s_waitcnt lgkmcnt(0)
	v_mov_b32_e32 v12, s3
	v_cndmask_b32_e64 v0, v0, v8, s[0:1]
	v_cndmask_b32_e32 v3, v3, v9, vcc
	v_add_co_u32_e32 v8, vcc, s2, v6
	v_addc_co_u32_e32 v9, vcc, v12, v7, vcc
	v_add_u32_e32 v13, 1, v2
	v_cmp_le_u32_e32 vcc, s8, v3
	v_subrev_u32_e32 v6, s11, v0
	v_cndmask_b32_e32 v2, v2, v13, vcc
	v_cmp_le_u32_e32 vcc, s11, v0
	v_cndmask_b32_e32 v0, v0, v6, vcc
	v_xor_b32_e32 v2, v2, v10
	s_mul_i32 s4, s10, s9
	v_xor_b32_e32 v3, v0, v1
	v_sub_u32_e32 v0, v2, v10
	v_mul_lo_u32 v0, s4, v0
	s_ashr_i32 s5, s9, 31
	v_sub_u32_e32 v1, v3, v1
	v_ashrrev_i32_e32 v2, 31, v1
	v_lshlrev_b64 v[2:3], 3, v[1:2]
	v_ashrrev_i32_e32 v1, 31, v0
	v_lshlrev_b64 v[0:1], 3, v[0:1]
	v_mov_b32_e32 v11, s7
	v_add_co_u32_e32 v10, vcc, s6, v0
	v_addc_co_u32_e32 v11, vcc, v11, v1, vcc
	s_waitcnt vmcnt(0)
	v_mul_lo_u32 v6, v4, s5
	v_mul_lo_u32 v7, v5, s9
	v_mad_u64_u32 v[4:5], s[0:1], v4, s9, 0
	s_mov_b64 s[0:1], 0
	v_add3_u32 v5, v5, v6, v7
	v_lshlrev_b64 v[0:1], 3, v[4:5]
	v_add_co_u32_e32 v0, vcc, v10, v0
	v_addc_co_u32_e32 v1, vcc, v11, v1, vcc
	v_add_co_u32_e32 v4, vcc, v0, v2
	v_addc_co_u32_e32 v5, vcc, v1, v3, vcc
	global_load_dwordx2 v[6:7], v[8:9], off
	global_load_dwordx2 v[2:3], v[4:5], off glc
.LBB9_11:                               ; =>This Inner Loop Header: Depth=1
	s_waitcnt vmcnt(0)
	v_cmp_gt_i64_e32 vcc, v[2:3], v[6:7]
	v_cndmask_b32_e32 v1, v7, v3, vcc
	v_cndmask_b32_e32 v0, v6, v2, vcc
	global_atomic_cmpswap_x2 v[0:1], v[4:5], v[0:3], off glc
	s_waitcnt vmcnt(0)
	v_cmp_eq_u64_e32 vcc, v[2:3], v[0:1]
	v_mov_b32_e32 v3, v1
	s_or_b64 s[0:1], vcc, s[0:1]
	v_mov_b32_e32 v2, v0
	s_andn2_b64 exec, exec, s[0:1]
	s_cbranch_execnz .LBB9_11
.LBB9_12:
	s_endpgm
	.section	.rodata,"a",@progbits
	.p2align	6, 0x0
	.amdhsa_kernel _Z14scatter_kernelIlL13ReductionType4EEvPKT_10TensorInfoIllEPS1_iiii
		.amdhsa_group_segment_fixed_size 0
		.amdhsa_private_segment_fixed_size 0
		.amdhsa_kernarg_size 704
		.amdhsa_user_sgpr_count 6
		.amdhsa_user_sgpr_private_segment_buffer 1
		.amdhsa_user_sgpr_dispatch_ptr 0
		.amdhsa_user_sgpr_queue_ptr 0
		.amdhsa_user_sgpr_kernarg_segment_ptr 1
		.amdhsa_user_sgpr_dispatch_id 0
		.amdhsa_user_sgpr_flat_scratch_init 0
		.amdhsa_user_sgpr_private_segment_size 0
		.amdhsa_uses_dynamic_stack 0
		.amdhsa_system_sgpr_private_segment_wavefront_offset 0
		.amdhsa_system_sgpr_workgroup_id_x 1
		.amdhsa_system_sgpr_workgroup_id_y 0
		.amdhsa_system_sgpr_workgroup_id_z 0
		.amdhsa_system_sgpr_workgroup_info 0
		.amdhsa_system_vgpr_workitem_id 0
		.amdhsa_next_free_vgpr 21
		.amdhsa_next_free_sgpr 29
		.amdhsa_reserve_vcc 1
		.amdhsa_reserve_flat_scratch 0
		.amdhsa_float_round_mode_32 0
		.amdhsa_float_round_mode_16_64 0
		.amdhsa_float_denorm_mode_32 3
		.amdhsa_float_denorm_mode_16_64 3
		.amdhsa_dx10_clamp 1
		.amdhsa_ieee_mode 1
		.amdhsa_fp16_overflow 0
		.amdhsa_exception_fp_ieee_invalid_op 0
		.amdhsa_exception_fp_denorm_src 0
		.amdhsa_exception_fp_ieee_div_zero 0
		.amdhsa_exception_fp_ieee_overflow 0
		.amdhsa_exception_fp_ieee_underflow 0
		.amdhsa_exception_fp_ieee_inexact 0
		.amdhsa_exception_int_div_zero 0
	.end_amdhsa_kernel
	.section	.text._Z14scatter_kernelIlL13ReductionType4EEvPKT_10TensorInfoIllEPS1_iiii,"axG",@progbits,_Z14scatter_kernelIlL13ReductionType4EEvPKT_10TensorInfoIllEPS1_iiii,comdat
.Lfunc_end9:
	.size	_Z14scatter_kernelIlL13ReductionType4EEvPKT_10TensorInfoIllEPS1_iiii, .Lfunc_end9-_Z14scatter_kernelIlL13ReductionType4EEvPKT_10TensorInfoIllEPS1_iiii
                                        ; -- End function
	.set _Z14scatter_kernelIlL13ReductionType4EEvPKT_10TensorInfoIllEPS1_iiii.num_vgpr, 21
	.set _Z14scatter_kernelIlL13ReductionType4EEvPKT_10TensorInfoIllEPS1_iiii.num_agpr, 0
	.set _Z14scatter_kernelIlL13ReductionType4EEvPKT_10TensorInfoIllEPS1_iiii.numbered_sgpr, 29
	.set _Z14scatter_kernelIlL13ReductionType4EEvPKT_10TensorInfoIllEPS1_iiii.num_named_barrier, 0
	.set _Z14scatter_kernelIlL13ReductionType4EEvPKT_10TensorInfoIllEPS1_iiii.private_seg_size, 0
	.set _Z14scatter_kernelIlL13ReductionType4EEvPKT_10TensorInfoIllEPS1_iiii.uses_vcc, 1
	.set _Z14scatter_kernelIlL13ReductionType4EEvPKT_10TensorInfoIllEPS1_iiii.uses_flat_scratch, 0
	.set _Z14scatter_kernelIlL13ReductionType4EEvPKT_10TensorInfoIllEPS1_iiii.has_dyn_sized_stack, 0
	.set _Z14scatter_kernelIlL13ReductionType4EEvPKT_10TensorInfoIllEPS1_iiii.has_recursion, 0
	.set _Z14scatter_kernelIlL13ReductionType4EEvPKT_10TensorInfoIllEPS1_iiii.has_indirect_call, 0
	.section	.AMDGPU.csdata,"",@progbits
; Kernel info:
; codeLenInByte = 1540
; TotalNumSgprs: 33
; NumVgprs: 21
; ScratchSize: 0
; MemoryBound: 0
; FloatMode: 240
; IeeeMode: 1
; LDSByteSize: 0 bytes/workgroup (compile time only)
; SGPRBlocks: 4
; VGPRBlocks: 5
; NumSGPRsForWavesPerEU: 33
; NumVGPRsForWavesPerEU: 21
; Occupancy: 10
; WaveLimiterHint : 1
; COMPUTE_PGM_RSRC2:SCRATCH_EN: 0
; COMPUTE_PGM_RSRC2:USER_SGPR: 6
; COMPUTE_PGM_RSRC2:TRAP_HANDLER: 0
; COMPUTE_PGM_RSRC2:TGID_X_EN: 1
; COMPUTE_PGM_RSRC2:TGID_Y_EN: 0
; COMPUTE_PGM_RSRC2:TGID_Z_EN: 0
; COMPUTE_PGM_RSRC2:TIDIG_COMP_CNT: 0
	.section	.text._Z14scatter_kernelIfL13ReductionType1EEvPKT_10TensorInfoIllEPS1_iiii,"axG",@progbits,_Z14scatter_kernelIfL13ReductionType1EEvPKT_10TensorInfoIllEPS1_iiii,comdat
	.protected	_Z14scatter_kernelIfL13ReductionType1EEvPKT_10TensorInfoIllEPS1_iiii ; -- Begin function _Z14scatter_kernelIfL13ReductionType1EEvPKT_10TensorInfoIllEPS1_iiii
	.globl	_Z14scatter_kernelIfL13ReductionType1EEvPKT_10TensorInfoIllEPS1_iiii
	.p2align	8
	.type	_Z14scatter_kernelIfL13ReductionType1EEvPKT_10TensorInfoIllEPS1_iiii,@function
_Z14scatter_kernelIfL13ReductionType1EEvPKT_10TensorInfoIllEPS1_iiii: ; @_Z14scatter_kernelIfL13ReductionType1EEvPKT_10TensorInfoIllEPS1_iiii
; %bb.0:
	s_load_dword s0, s[4:5], 0x1cc
	s_load_dwordx4 s[8:11], s[4:5], 0x1b0
	s_waitcnt lgkmcnt(0)
	s_and_b32 s0, s0, 0xffff
	s_mul_i32 s6, s6, s0
	v_add_u32_e32 v0, s6, v0
	v_cmp_gt_i32_e32 vcc, s11, v0
	s_and_saveexec_b64 s[0:1], vcc
	s_cbranch_execz .LBB10_12
; %bb.1:
	s_add_u32 s2, s4, 8
	s_addc_u32 s3, s5, 0
	s_abs_i32 s11, s9
	s_mul_i32 s20, s9, s8
	v_cvt_f32_u32_e32 v1, s11
	s_abs_i32 s8, s20
	v_cvt_f32_u32_e32 v2, s8
	s_sub_i32 s0, 0, s11
	v_rcp_iflag_f32_e32 v1, v1
	v_sub_u32_e32 v5, 0, v0
	v_rcp_iflag_f32_e32 v2, v2
	v_max_i32_e32 v12, v0, v5
	v_mul_f32_e32 v1, 0x4f7ffffe, v1
	v_cvt_u32_f32_e32 v1, v1
	v_mul_f32_e32 v2, 0x4f7ffffe, v2
	v_cvt_u32_f32_e32 v4, v2
	s_mov_b32 s1, 0
	v_mul_lo_u32 v2, s0, v1
	s_sub_i32 s0, 0, s8
	v_mul_lo_u32 v3, s0, v4
	s_load_dword s0, s[4:5], 0x1a0
	v_mul_hi_u32 v2, v1, v2
	v_mul_hi_u32 v5, v4, v3
	v_add_u32_e32 v1, v1, v2
	v_mad_u64_u32 v[2:3], s[6:7], v12, v1, 0
	v_add_u32_e32 v1, v4, v5
	v_mad_u64_u32 v[1:2], s[6:7], v12, v1, 0
	v_mov_b32_e32 v4, 0
	s_waitcnt lgkmcnt(0)
	s_cmp_lt_i32 s0, 2
	v_ashrrev_i32_e32 v1, 31, v0
	v_mov_b32_e32 v5, 0
	s_cbranch_scc1 .LBB10_9
; %bb.2:
	s_add_i32 s21, s0, 1
	s_add_i32 s0, s0, -1
	s_lshl_b64 s[0:1], s[0:1], 3
	s_add_u32 s0, s2, s0
	s_addc_u32 s1, s3, s1
	s_add_u32 s6, s0, 8
	v_mov_b32_e32 v4, 0
	v_mov_b32_e32 v9, v1
	s_addc_u32 s7, s1, 0
	v_mov_b32_e32 v5, 0
	v_mov_b32_e32 v6, 0
	;; [unrolled: 1-line block ×3, first 2 shown]
.LBB10_3:                               ; =>This Inner Loop Header: Depth=1
	s_load_dwordx2 s[12:13], s[6:7], 0x0
                                        ; implicit-def: $vgpr10_vgpr11
	s_waitcnt lgkmcnt(0)
	v_or_b32_e32 v7, s13, v9
	v_cmp_ne_u64_e32 vcc, 0, v[6:7]
	s_and_saveexec_b64 s[0:1], vcc
	s_xor_b64 s[14:15], exec, s[0:1]
	s_cbranch_execz .LBB10_5
; %bb.4:                                ;   in Loop: Header=BB10_3 Depth=1
	s_ashr_i32 s16, s13, 31
	s_add_u32 s0, s12, s16
	s_mov_b32 s17, s16
	s_addc_u32 s1, s13, s16
	s_xor_b64 s[18:19], s[0:1], s[16:17]
	v_cvt_f32_u32_e32 v7, s18
	v_cvt_f32_u32_e32 v10, s19
	s_sub_u32 s17, 0, s18
	s_subb_u32 s22, 0, s19
	v_mac_f32_e32 v7, 0x4f800000, v10
	v_rcp_f32_e32 v7, v7
	v_mul_f32_e32 v7, 0x5f7ffffc, v7
	v_mul_f32_e32 v10, 0x2f800000, v7
	v_trunc_f32_e32 v10, v10
	v_mac_f32_e32 v7, 0xcf800000, v10
	v_cvt_u32_f32_e32 v10, v10
	v_cvt_u32_f32_e32 v7, v7
	v_readfirstlane_b32 s23, v10
	v_readfirstlane_b32 s0, v7
	s_mul_i32 s1, s17, s23
	s_mul_hi_u32 s25, s17, s0
	s_mul_i32 s24, s22, s0
	s_add_i32 s1, s25, s1
	s_add_i32 s1, s1, s24
	s_mul_i32 s26, s17, s0
	s_mul_i32 s25, s0, s1
	s_mul_hi_u32 s27, s0, s26
	s_mul_hi_u32 s24, s0, s1
	s_add_u32 s25, s27, s25
	s_addc_u32 s24, 0, s24
	s_mul_hi_u32 s28, s23, s26
	s_mul_i32 s26, s23, s26
	s_add_u32 s25, s25, s26
	s_mul_hi_u32 s27, s23, s1
	s_addc_u32 s24, s24, s28
	s_addc_u32 s25, s27, 0
	s_mul_i32 s1, s23, s1
	s_add_u32 s1, s24, s1
	s_addc_u32 s24, 0, s25
	s_add_u32 s25, s0, s1
	s_cselect_b64 s[0:1], -1, 0
	s_cmp_lg_u64 s[0:1], 0
	s_addc_u32 s23, s23, s24
	s_mul_i32 s0, s17, s23
	s_mul_hi_u32 s1, s17, s25
	s_add_i32 s0, s1, s0
	s_mul_i32 s22, s22, s25
	s_add_i32 s0, s0, s22
	s_mul_i32 s17, s17, s25
	s_mul_hi_u32 s22, s23, s17
	s_mul_i32 s24, s23, s17
	s_mul_i32 s27, s25, s0
	s_mul_hi_u32 s17, s25, s17
	s_mul_hi_u32 s26, s25, s0
	s_add_u32 s17, s17, s27
	s_addc_u32 s26, 0, s26
	s_add_u32 s17, s17, s24
	s_mul_hi_u32 s1, s23, s0
	s_addc_u32 s17, s26, s22
	s_addc_u32 s1, s1, 0
	s_mul_i32 s0, s23, s0
	s_add_u32 s0, s17, s0
	s_addc_u32 s17, 0, s1
	s_add_u32 s22, s25, s0
	s_cselect_b64 s[0:1], -1, 0
	v_ashrrev_i32_e32 v7, 31, v9
	s_cmp_lg_u64 s[0:1], 0
	v_add_co_u32_e32 v10, vcc, v8, v7
	s_addc_u32 s17, s23, s17
	v_xor_b32_e32 v15, v10, v7
	v_mad_u64_u32 v[10:11], s[0:1], v15, s17, 0
	v_mul_hi_u32 v14, v15, s22
	v_addc_co_u32_e32 v13, vcc, v9, v7, vcc
	v_xor_b32_e32 v16, v13, v7
	v_add_co_u32_e32 v17, vcc, v14, v10
	v_addc_co_u32_e32 v18, vcc, 0, v11, vcc
	v_mad_u64_u32 v[10:11], s[0:1], v16, s22, 0
	v_mad_u64_u32 v[13:14], s[0:1], v16, s17, 0
	v_add_co_u32_e32 v10, vcc, v17, v10
	v_addc_co_u32_e32 v10, vcc, v18, v11, vcc
	v_addc_co_u32_e32 v11, vcc, 0, v14, vcc
	v_add_co_u32_e32 v13, vcc, v10, v13
	v_addc_co_u32_e32 v14, vcc, 0, v11, vcc
	v_mul_lo_u32 v17, s19, v13
	v_mul_lo_u32 v18, s18, v14
	v_mad_u64_u32 v[10:11], s[0:1], s18, v13, 0
	v_xor_b32_e32 v7, s16, v7
	v_add3_u32 v11, v11, v18, v17
	v_sub_u32_e32 v17, v16, v11
	v_mov_b32_e32 v18, s19
	v_sub_co_u32_e32 v10, vcc, v15, v10
	v_subb_co_u32_e64 v15, s[0:1], v17, v18, vcc
	v_subrev_co_u32_e64 v17, s[0:1], s18, v10
	v_subbrev_co_u32_e64 v15, s[0:1], 0, v15, s[0:1]
	v_cmp_le_u32_e64 s[0:1], s19, v15
	v_cndmask_b32_e64 v18, 0, -1, s[0:1]
	v_cmp_le_u32_e64 s[0:1], s18, v17
	v_cndmask_b32_e64 v17, 0, -1, s[0:1]
	v_cmp_eq_u32_e64 s[0:1], s19, v15
	v_cndmask_b32_e64 v15, v18, v17, s[0:1]
	v_add_co_u32_e64 v17, s[0:1], 2, v13
	v_subb_co_u32_e32 v11, vcc, v16, v11, vcc
	v_addc_co_u32_e64 v18, s[0:1], 0, v14, s[0:1]
	v_cmp_le_u32_e32 vcc, s19, v11
	v_add_co_u32_e64 v19, s[0:1], 1, v13
	v_cndmask_b32_e64 v16, 0, -1, vcc
	v_cmp_le_u32_e32 vcc, s18, v10
	v_addc_co_u32_e64 v20, s[0:1], 0, v14, s[0:1]
	v_cndmask_b32_e64 v10, 0, -1, vcc
	v_cmp_eq_u32_e32 vcc, s19, v11
	v_cmp_ne_u32_e64 s[0:1], 0, v15
	v_cndmask_b32_e32 v10, v16, v10, vcc
	v_cndmask_b32_e64 v15, v20, v18, s[0:1]
	v_cmp_ne_u32_e32 vcc, 0, v10
	v_cndmask_b32_e64 v11, v19, v17, s[0:1]
	v_cndmask_b32_e32 v10, v14, v15, vcc
	v_cndmask_b32_e32 v11, v13, v11, vcc
	v_xor_b32_e32 v13, v10, v7
	v_xor_b32_e32 v10, v11, v7
	v_sub_co_u32_e32 v10, vcc, v10, v7
	v_subb_co_u32_e32 v11, vcc, v13, v7, vcc
.LBB10_5:                               ;   in Loop: Header=BB10_3 Depth=1
	s_andn2_saveexec_b64 s[0:1], s[14:15]
	s_cbranch_execz .LBB10_7
; %bb.6:                                ;   in Loop: Header=BB10_3 Depth=1
	v_cvt_f32_u32_e32 v7, s12
	s_sub_i32 s14, 0, s12
	v_rcp_iflag_f32_e32 v7, v7
	v_mul_f32_e32 v7, 0x4f7ffffe, v7
	v_cvt_u32_f32_e32 v7, v7
	v_mul_lo_u32 v10, s14, v7
	v_mul_hi_u32 v10, v7, v10
	v_add_u32_e32 v7, v7, v10
	v_mul_hi_u32 v7, v8, v7
	v_mul_lo_u32 v10, v7, s12
	v_add_u32_e32 v11, 1, v7
	v_sub_u32_e32 v10, v8, v10
	v_subrev_u32_e32 v13, s12, v10
	v_cmp_le_u32_e32 vcc, s12, v10
	v_cndmask_b32_e32 v10, v10, v13, vcc
	v_cndmask_b32_e32 v7, v7, v11, vcc
	v_add_u32_e32 v11, 1, v7
	v_cmp_le_u32_e32 vcc, s12, v10
	v_cndmask_b32_e32 v10, v7, v11, vcc
	v_mov_b32_e32 v11, v6
.LBB10_7:                               ;   in Loop: Header=BB10_3 Depth=1
	s_or_b64 exec, exec, s[0:1]
	v_mul_lo_u32 v7, v11, s12
	v_mul_lo_u32 v15, v10, s13
	v_mad_u64_u32 v[13:14], s[0:1], v10, s12, 0
	s_load_dwordx2 s[0:1], s[6:7], 0xc8
	s_add_i32 s21, s21, -1
	v_add3_u32 v7, v14, v15, v7
	v_sub_co_u32_e32 v8, vcc, v8, v13
	v_subb_co_u32_e32 v7, vcc, v9, v7, vcc
	s_waitcnt lgkmcnt(0)
	v_mul_lo_u32 v7, s0, v7
	v_mul_lo_u32 v9, s1, v8
	v_mad_u64_u32 v[4:5], s[0:1], s0, v8, v[4:5]
	s_add_u32 s6, s6, -8
	s_addc_u32 s7, s7, -1
	s_cmp_gt_u32 s21, 2
	v_add3_u32 v5, v9, v5, v7
	s_cbranch_scc0 .LBB10_10
; %bb.8:                                ;   in Loop: Header=BB10_3 Depth=1
	v_mov_b32_e32 v8, v10
	v_mov_b32_e32 v9, v11
	s_branch .LBB10_3
.LBB10_9:
	v_mov_b32_e32 v11, v1
	v_mov_b32_e32 v10, v0
.LBB10_10:
	s_load_dwordx2 s[6:7], s[4:5], 0x1a8
	s_load_dword s1, s[2:3], 0xd0
	s_load_dwordx2 s[12:13], s[2:3], 0x0
	v_mul_lo_u32 v3, v3, s11
	v_mul_lo_u32 v9, v2, s8
	s_ashr_i32 s0, s20, 31
	s_waitcnt lgkmcnt(0)
	v_mad_u64_u32 v[4:5], s[2:3], s1, v10, v[4:5]
	v_mov_b32_e32 v5, 0
	v_mov_b32_e32 v7, s13
	;; [unrolled: 1-line block ×3, first 2 shown]
	v_ashrrev_i64 v[4:5], 29, v[5:6]
	s_load_dwordx2 s[2:3], s[4:5], 0x0
	v_add_co_u32_e32 v4, vcc, s12, v4
	v_addc_co_u32_e32 v5, vcc, v7, v5, vcc
	global_load_dwordx2 v[4:5], v[4:5], off
	v_lshlrev_b64 v[6:7], 2, v[0:1]
	v_sub_u32_e32 v0, v12, v3
	v_sub_u32_e32 v3, v12, v9
	v_add_u32_e32 v10, 1, v2
	v_cmp_le_u32_e32 vcc, s8, v3
	v_cndmask_b32_e32 v2, v2, v10, vcc
	v_subrev_u32_e32 v10, s8, v3
	s_waitcnt lgkmcnt(0)
	v_mov_b32_e32 v12, s3
	v_cndmask_b32_e32 v3, v3, v10, vcc
	v_add_co_u32_e32 v6, vcc, s2, v6
	v_xor_b32_e32 v8, s0, v1
	v_subrev_u32_e32 v9, s11, v0
	v_cmp_le_u32_e64 s[0:1], s11, v0
	v_addc_co_u32_e32 v7, vcc, v12, v7, vcc
	v_cndmask_b32_e64 v0, v0, v9, s[0:1]
	v_add_u32_e32 v9, 1, v2
	v_cmp_le_u32_e32 vcc, s8, v3
	v_subrev_u32_e32 v10, s11, v0
	v_cndmask_b32_e32 v2, v2, v9, vcc
	v_cmp_le_u32_e32 vcc, s11, v0
	v_cndmask_b32_e32 v0, v0, v10, vcc
	v_xor_b32_e32 v2, v2, v8
	s_mul_i32 s4, s10, s9
	v_xor_b32_e32 v3, v0, v1
	v_sub_u32_e32 v0, v2, v8
	v_mul_lo_u32 v0, s4, v0
	s_ashr_i32 s5, s9, 31
	v_sub_u32_e32 v1, v3, v1
	v_ashrrev_i32_e32 v2, 31, v1
	v_lshlrev_b64 v[2:3], 2, v[1:2]
	v_ashrrev_i32_e32 v1, 31, v0
	v_lshlrev_b64 v[0:1], 2, v[0:1]
	v_mov_b32_e32 v11, s7
	v_add_co_u32_e32 v10, vcc, s6, v0
	v_addc_co_u32_e32 v11, vcc, v11, v1, vcc
	s_waitcnt vmcnt(0)
	v_mul_lo_u32 v8, v4, s5
	v_mul_lo_u32 v9, v5, s9
	v_mad_u64_u32 v[4:5], s[0:1], v4, s9, 0
	s_mov_b64 s[0:1], 0
	v_add3_u32 v5, v5, v8, v9
	v_lshlrev_b64 v[0:1], 2, v[4:5]
	v_add_co_u32_e32 v0, vcc, v10, v0
	v_addc_co_u32_e32 v1, vcc, v11, v1, vcc
	v_add_co_u32_e32 v0, vcc, v0, v2
	v_addc_co_u32_e32 v1, vcc, v1, v3, vcc
	global_load_dword v4, v[6:7], off
	global_load_dword v3, v[0:1], off glc
.LBB10_11:                              ; =>This Inner Loop Header: Depth=1
	s_waitcnt vmcnt(0)
	v_mul_f32_e32 v2, v4, v3
	global_atomic_cmpswap v2, v[0:1], v[2:3], off glc
	s_waitcnt vmcnt(0)
	v_cmp_eq_u32_e32 vcc, v3, v2
	s_or_b64 s[0:1], vcc, s[0:1]
	v_mov_b32_e32 v3, v2
	s_andn2_b64 exec, exec, s[0:1]
	s_cbranch_execnz .LBB10_11
.LBB10_12:
	s_endpgm
	.section	.rodata,"a",@progbits
	.p2align	6, 0x0
	.amdhsa_kernel _Z14scatter_kernelIfL13ReductionType1EEvPKT_10TensorInfoIllEPS1_iiii
		.amdhsa_group_segment_fixed_size 0
		.amdhsa_private_segment_fixed_size 0
		.amdhsa_kernarg_size 704
		.amdhsa_user_sgpr_count 6
		.amdhsa_user_sgpr_private_segment_buffer 1
		.amdhsa_user_sgpr_dispatch_ptr 0
		.amdhsa_user_sgpr_queue_ptr 0
		.amdhsa_user_sgpr_kernarg_segment_ptr 1
		.amdhsa_user_sgpr_dispatch_id 0
		.amdhsa_user_sgpr_flat_scratch_init 0
		.amdhsa_user_sgpr_private_segment_size 0
		.amdhsa_uses_dynamic_stack 0
		.amdhsa_system_sgpr_private_segment_wavefront_offset 0
		.amdhsa_system_sgpr_workgroup_id_x 1
		.amdhsa_system_sgpr_workgroup_id_y 0
		.amdhsa_system_sgpr_workgroup_id_z 0
		.amdhsa_system_sgpr_workgroup_info 0
		.amdhsa_system_vgpr_workitem_id 0
		.amdhsa_next_free_vgpr 21
		.amdhsa_next_free_sgpr 29
		.amdhsa_reserve_vcc 1
		.amdhsa_reserve_flat_scratch 0
		.amdhsa_float_round_mode_32 0
		.amdhsa_float_round_mode_16_64 0
		.amdhsa_float_denorm_mode_32 3
		.amdhsa_float_denorm_mode_16_64 3
		.amdhsa_dx10_clamp 1
		.amdhsa_ieee_mode 1
		.amdhsa_fp16_overflow 0
		.amdhsa_exception_fp_ieee_invalid_op 0
		.amdhsa_exception_fp_denorm_src 0
		.amdhsa_exception_fp_ieee_div_zero 0
		.amdhsa_exception_fp_ieee_overflow 0
		.amdhsa_exception_fp_ieee_underflow 0
		.amdhsa_exception_fp_ieee_inexact 0
		.amdhsa_exception_int_div_zero 0
	.end_amdhsa_kernel
	.section	.text._Z14scatter_kernelIfL13ReductionType1EEvPKT_10TensorInfoIllEPS1_iiii,"axG",@progbits,_Z14scatter_kernelIfL13ReductionType1EEvPKT_10TensorInfoIllEPS1_iiii,comdat
.Lfunc_end10:
	.size	_Z14scatter_kernelIfL13ReductionType1EEvPKT_10TensorInfoIllEPS1_iiii, .Lfunc_end10-_Z14scatter_kernelIfL13ReductionType1EEvPKT_10TensorInfoIllEPS1_iiii
                                        ; -- End function
	.set _Z14scatter_kernelIfL13ReductionType1EEvPKT_10TensorInfoIllEPS1_iiii.num_vgpr, 21
	.set _Z14scatter_kernelIfL13ReductionType1EEvPKT_10TensorInfoIllEPS1_iiii.num_agpr, 0
	.set _Z14scatter_kernelIfL13ReductionType1EEvPKT_10TensorInfoIllEPS1_iiii.numbered_sgpr, 29
	.set _Z14scatter_kernelIfL13ReductionType1EEvPKT_10TensorInfoIllEPS1_iiii.num_named_barrier, 0
	.set _Z14scatter_kernelIfL13ReductionType1EEvPKT_10TensorInfoIllEPS1_iiii.private_seg_size, 0
	.set _Z14scatter_kernelIfL13ReductionType1EEvPKT_10TensorInfoIllEPS1_iiii.uses_vcc, 1
	.set _Z14scatter_kernelIfL13ReductionType1EEvPKT_10TensorInfoIllEPS1_iiii.uses_flat_scratch, 0
	.set _Z14scatter_kernelIfL13ReductionType1EEvPKT_10TensorInfoIllEPS1_iiii.has_dyn_sized_stack, 0
	.set _Z14scatter_kernelIfL13ReductionType1EEvPKT_10TensorInfoIllEPS1_iiii.has_recursion, 0
	.set _Z14scatter_kernelIfL13ReductionType1EEvPKT_10TensorInfoIllEPS1_iiii.has_indirect_call, 0
	.section	.AMDGPU.csdata,"",@progbits
; Kernel info:
; codeLenInByte = 1528
; TotalNumSgprs: 33
; NumVgprs: 21
; ScratchSize: 0
; MemoryBound: 0
; FloatMode: 240
; IeeeMode: 1
; LDSByteSize: 0 bytes/workgroup (compile time only)
; SGPRBlocks: 4
; VGPRBlocks: 5
; NumSGPRsForWavesPerEU: 33
; NumVGPRsForWavesPerEU: 21
; Occupancy: 10
; WaveLimiterHint : 1
; COMPUTE_PGM_RSRC2:SCRATCH_EN: 0
; COMPUTE_PGM_RSRC2:USER_SGPR: 6
; COMPUTE_PGM_RSRC2:TRAP_HANDLER: 0
; COMPUTE_PGM_RSRC2:TGID_X_EN: 1
; COMPUTE_PGM_RSRC2:TGID_Y_EN: 0
; COMPUTE_PGM_RSRC2:TGID_Z_EN: 0
; COMPUTE_PGM_RSRC2:TIDIG_COMP_CNT: 0
	.section	.text._Z14scatter_kernelIfL13ReductionType2EEvPKT_10TensorInfoIllEPS1_iiii,"axG",@progbits,_Z14scatter_kernelIfL13ReductionType2EEvPKT_10TensorInfoIllEPS1_iiii,comdat
	.protected	_Z14scatter_kernelIfL13ReductionType2EEvPKT_10TensorInfoIllEPS1_iiii ; -- Begin function _Z14scatter_kernelIfL13ReductionType2EEvPKT_10TensorInfoIllEPS1_iiii
	.globl	_Z14scatter_kernelIfL13ReductionType2EEvPKT_10TensorInfoIllEPS1_iiii
	.p2align	8
	.type	_Z14scatter_kernelIfL13ReductionType2EEvPKT_10TensorInfoIllEPS1_iiii,@function
_Z14scatter_kernelIfL13ReductionType2EEvPKT_10TensorInfoIllEPS1_iiii: ; @_Z14scatter_kernelIfL13ReductionType2EEvPKT_10TensorInfoIllEPS1_iiii
; %bb.0:
	s_load_dword s0, s[4:5], 0x1cc
	s_load_dwordx4 s[8:11], s[4:5], 0x1b0
	s_waitcnt lgkmcnt(0)
	s_and_b32 s0, s0, 0xffff
	s_mul_i32 s6, s6, s0
	v_add_u32_e32 v0, s6, v0
	v_cmp_gt_i32_e32 vcc, s11, v0
	s_and_saveexec_b64 s[0:1], vcc
	s_cbranch_execz .LBB11_12
; %bb.1:
	s_add_u32 s2, s4, 8
	s_addc_u32 s3, s5, 0
	s_abs_i32 s11, s9
	s_mul_i32 s20, s9, s8
	v_cvt_f32_u32_e32 v1, s11
	s_abs_i32 s8, s20
	v_cvt_f32_u32_e32 v2, s8
	s_sub_i32 s0, 0, s11
	v_rcp_iflag_f32_e32 v1, v1
	v_sub_u32_e32 v5, 0, v0
	v_rcp_iflag_f32_e32 v2, v2
	v_max_i32_e32 v12, v0, v5
	v_mul_f32_e32 v1, 0x4f7ffffe, v1
	v_cvt_u32_f32_e32 v1, v1
	v_mul_f32_e32 v2, 0x4f7ffffe, v2
	v_cvt_u32_f32_e32 v4, v2
	s_mov_b32 s1, 0
	v_mul_lo_u32 v2, s0, v1
	s_sub_i32 s0, 0, s8
	v_mul_lo_u32 v3, s0, v4
	s_load_dword s0, s[4:5], 0x1a0
	v_mul_hi_u32 v2, v1, v2
	v_mul_hi_u32 v5, v4, v3
	v_add_u32_e32 v1, v1, v2
	v_mad_u64_u32 v[2:3], s[6:7], v12, v1, 0
	v_add_u32_e32 v1, v4, v5
	v_mad_u64_u32 v[1:2], s[6:7], v12, v1, 0
	v_mov_b32_e32 v4, 0
	s_waitcnt lgkmcnt(0)
	s_cmp_lt_i32 s0, 2
	v_ashrrev_i32_e32 v1, 31, v0
	v_mov_b32_e32 v5, 0
	s_cbranch_scc1 .LBB11_9
; %bb.2:
	s_add_i32 s21, s0, 1
	s_add_i32 s0, s0, -1
	s_lshl_b64 s[0:1], s[0:1], 3
	s_add_u32 s0, s2, s0
	s_addc_u32 s1, s3, s1
	s_add_u32 s6, s0, 8
	v_mov_b32_e32 v4, 0
	v_mov_b32_e32 v9, v1
	s_addc_u32 s7, s1, 0
	v_mov_b32_e32 v5, 0
	v_mov_b32_e32 v6, 0
	;; [unrolled: 1-line block ×3, first 2 shown]
.LBB11_3:                               ; =>This Inner Loop Header: Depth=1
	s_load_dwordx2 s[12:13], s[6:7], 0x0
                                        ; implicit-def: $vgpr10_vgpr11
	s_waitcnt lgkmcnt(0)
	v_or_b32_e32 v7, s13, v9
	v_cmp_ne_u64_e32 vcc, 0, v[6:7]
	s_and_saveexec_b64 s[0:1], vcc
	s_xor_b64 s[14:15], exec, s[0:1]
	s_cbranch_execz .LBB11_5
; %bb.4:                                ;   in Loop: Header=BB11_3 Depth=1
	s_ashr_i32 s16, s13, 31
	s_add_u32 s0, s12, s16
	s_mov_b32 s17, s16
	s_addc_u32 s1, s13, s16
	s_xor_b64 s[18:19], s[0:1], s[16:17]
	v_cvt_f32_u32_e32 v7, s18
	v_cvt_f32_u32_e32 v10, s19
	s_sub_u32 s17, 0, s18
	s_subb_u32 s22, 0, s19
	v_mac_f32_e32 v7, 0x4f800000, v10
	v_rcp_f32_e32 v7, v7
	v_mul_f32_e32 v7, 0x5f7ffffc, v7
	v_mul_f32_e32 v10, 0x2f800000, v7
	v_trunc_f32_e32 v10, v10
	v_mac_f32_e32 v7, 0xcf800000, v10
	v_cvt_u32_f32_e32 v10, v10
	v_cvt_u32_f32_e32 v7, v7
	v_readfirstlane_b32 s23, v10
	v_readfirstlane_b32 s0, v7
	s_mul_i32 s1, s17, s23
	s_mul_hi_u32 s25, s17, s0
	s_mul_i32 s24, s22, s0
	s_add_i32 s1, s25, s1
	s_add_i32 s1, s1, s24
	s_mul_i32 s26, s17, s0
	s_mul_i32 s25, s0, s1
	s_mul_hi_u32 s27, s0, s26
	s_mul_hi_u32 s24, s0, s1
	s_add_u32 s25, s27, s25
	s_addc_u32 s24, 0, s24
	s_mul_hi_u32 s28, s23, s26
	s_mul_i32 s26, s23, s26
	s_add_u32 s25, s25, s26
	s_mul_hi_u32 s27, s23, s1
	s_addc_u32 s24, s24, s28
	s_addc_u32 s25, s27, 0
	s_mul_i32 s1, s23, s1
	s_add_u32 s1, s24, s1
	s_addc_u32 s24, 0, s25
	s_add_u32 s25, s0, s1
	s_cselect_b64 s[0:1], -1, 0
	s_cmp_lg_u64 s[0:1], 0
	s_addc_u32 s23, s23, s24
	s_mul_i32 s0, s17, s23
	s_mul_hi_u32 s1, s17, s25
	s_add_i32 s0, s1, s0
	s_mul_i32 s22, s22, s25
	s_add_i32 s0, s0, s22
	s_mul_i32 s17, s17, s25
	s_mul_hi_u32 s22, s23, s17
	s_mul_i32 s24, s23, s17
	s_mul_i32 s27, s25, s0
	s_mul_hi_u32 s17, s25, s17
	s_mul_hi_u32 s26, s25, s0
	s_add_u32 s17, s17, s27
	s_addc_u32 s26, 0, s26
	s_add_u32 s17, s17, s24
	s_mul_hi_u32 s1, s23, s0
	s_addc_u32 s17, s26, s22
	s_addc_u32 s1, s1, 0
	s_mul_i32 s0, s23, s0
	s_add_u32 s0, s17, s0
	s_addc_u32 s17, 0, s1
	s_add_u32 s22, s25, s0
	s_cselect_b64 s[0:1], -1, 0
	v_ashrrev_i32_e32 v7, 31, v9
	s_cmp_lg_u64 s[0:1], 0
	v_add_co_u32_e32 v10, vcc, v8, v7
	s_addc_u32 s17, s23, s17
	v_xor_b32_e32 v15, v10, v7
	v_mad_u64_u32 v[10:11], s[0:1], v15, s17, 0
	v_mul_hi_u32 v14, v15, s22
	v_addc_co_u32_e32 v13, vcc, v9, v7, vcc
	v_xor_b32_e32 v16, v13, v7
	v_add_co_u32_e32 v17, vcc, v14, v10
	v_addc_co_u32_e32 v18, vcc, 0, v11, vcc
	v_mad_u64_u32 v[10:11], s[0:1], v16, s22, 0
	v_mad_u64_u32 v[13:14], s[0:1], v16, s17, 0
	v_add_co_u32_e32 v10, vcc, v17, v10
	v_addc_co_u32_e32 v10, vcc, v18, v11, vcc
	v_addc_co_u32_e32 v11, vcc, 0, v14, vcc
	v_add_co_u32_e32 v13, vcc, v10, v13
	v_addc_co_u32_e32 v14, vcc, 0, v11, vcc
	v_mul_lo_u32 v17, s19, v13
	v_mul_lo_u32 v18, s18, v14
	v_mad_u64_u32 v[10:11], s[0:1], s18, v13, 0
	v_xor_b32_e32 v7, s16, v7
	v_add3_u32 v11, v11, v18, v17
	v_sub_u32_e32 v17, v16, v11
	v_mov_b32_e32 v18, s19
	v_sub_co_u32_e32 v10, vcc, v15, v10
	v_subb_co_u32_e64 v15, s[0:1], v17, v18, vcc
	v_subrev_co_u32_e64 v17, s[0:1], s18, v10
	v_subbrev_co_u32_e64 v15, s[0:1], 0, v15, s[0:1]
	v_cmp_le_u32_e64 s[0:1], s19, v15
	v_cndmask_b32_e64 v18, 0, -1, s[0:1]
	v_cmp_le_u32_e64 s[0:1], s18, v17
	v_cndmask_b32_e64 v17, 0, -1, s[0:1]
	v_cmp_eq_u32_e64 s[0:1], s19, v15
	v_cndmask_b32_e64 v15, v18, v17, s[0:1]
	v_add_co_u32_e64 v17, s[0:1], 2, v13
	v_subb_co_u32_e32 v11, vcc, v16, v11, vcc
	v_addc_co_u32_e64 v18, s[0:1], 0, v14, s[0:1]
	v_cmp_le_u32_e32 vcc, s19, v11
	v_add_co_u32_e64 v19, s[0:1], 1, v13
	v_cndmask_b32_e64 v16, 0, -1, vcc
	v_cmp_le_u32_e32 vcc, s18, v10
	v_addc_co_u32_e64 v20, s[0:1], 0, v14, s[0:1]
	v_cndmask_b32_e64 v10, 0, -1, vcc
	v_cmp_eq_u32_e32 vcc, s19, v11
	v_cmp_ne_u32_e64 s[0:1], 0, v15
	v_cndmask_b32_e32 v10, v16, v10, vcc
	v_cndmask_b32_e64 v15, v20, v18, s[0:1]
	v_cmp_ne_u32_e32 vcc, 0, v10
	v_cndmask_b32_e64 v11, v19, v17, s[0:1]
	v_cndmask_b32_e32 v10, v14, v15, vcc
	v_cndmask_b32_e32 v11, v13, v11, vcc
	v_xor_b32_e32 v13, v10, v7
	v_xor_b32_e32 v10, v11, v7
	v_sub_co_u32_e32 v10, vcc, v10, v7
	v_subb_co_u32_e32 v11, vcc, v13, v7, vcc
.LBB11_5:                               ;   in Loop: Header=BB11_3 Depth=1
	s_andn2_saveexec_b64 s[0:1], s[14:15]
	s_cbranch_execz .LBB11_7
; %bb.6:                                ;   in Loop: Header=BB11_3 Depth=1
	v_cvt_f32_u32_e32 v7, s12
	s_sub_i32 s14, 0, s12
	v_rcp_iflag_f32_e32 v7, v7
	v_mul_f32_e32 v7, 0x4f7ffffe, v7
	v_cvt_u32_f32_e32 v7, v7
	v_mul_lo_u32 v10, s14, v7
	v_mul_hi_u32 v10, v7, v10
	v_add_u32_e32 v7, v7, v10
	v_mul_hi_u32 v7, v8, v7
	v_mul_lo_u32 v10, v7, s12
	v_add_u32_e32 v11, 1, v7
	v_sub_u32_e32 v10, v8, v10
	v_subrev_u32_e32 v13, s12, v10
	v_cmp_le_u32_e32 vcc, s12, v10
	v_cndmask_b32_e32 v10, v10, v13, vcc
	v_cndmask_b32_e32 v7, v7, v11, vcc
	v_add_u32_e32 v11, 1, v7
	v_cmp_le_u32_e32 vcc, s12, v10
	v_cndmask_b32_e32 v10, v7, v11, vcc
	v_mov_b32_e32 v11, v6
.LBB11_7:                               ;   in Loop: Header=BB11_3 Depth=1
	s_or_b64 exec, exec, s[0:1]
	v_mul_lo_u32 v7, v11, s12
	v_mul_lo_u32 v15, v10, s13
	v_mad_u64_u32 v[13:14], s[0:1], v10, s12, 0
	s_load_dwordx2 s[0:1], s[6:7], 0xc8
	s_add_i32 s21, s21, -1
	v_add3_u32 v7, v14, v15, v7
	v_sub_co_u32_e32 v8, vcc, v8, v13
	v_subb_co_u32_e32 v7, vcc, v9, v7, vcc
	s_waitcnt lgkmcnt(0)
	v_mul_lo_u32 v7, s0, v7
	v_mul_lo_u32 v9, s1, v8
	v_mad_u64_u32 v[4:5], s[0:1], s0, v8, v[4:5]
	s_add_u32 s6, s6, -8
	s_addc_u32 s7, s7, -1
	s_cmp_gt_u32 s21, 2
	v_add3_u32 v5, v9, v5, v7
	s_cbranch_scc0 .LBB11_10
; %bb.8:                                ;   in Loop: Header=BB11_3 Depth=1
	v_mov_b32_e32 v8, v10
	v_mov_b32_e32 v9, v11
	s_branch .LBB11_3
.LBB11_9:
	v_mov_b32_e32 v11, v1
	v_mov_b32_e32 v10, v0
.LBB11_10:
	s_load_dwordx2 s[6:7], s[4:5], 0x1a8
	s_load_dword s1, s[2:3], 0xd0
	s_load_dwordx2 s[12:13], s[2:3], 0x0
	v_mul_lo_u32 v3, v3, s11
	v_mul_lo_u32 v9, v2, s8
	s_ashr_i32 s0, s20, 31
	s_waitcnt lgkmcnt(0)
	v_mad_u64_u32 v[4:5], s[2:3], s1, v10, v[4:5]
	v_mov_b32_e32 v5, 0
	v_mov_b32_e32 v7, s13
	;; [unrolled: 1-line block ×3, first 2 shown]
	v_ashrrev_i64 v[4:5], 29, v[5:6]
	s_load_dwordx2 s[2:3], s[4:5], 0x0
	v_add_co_u32_e32 v4, vcc, s12, v4
	v_addc_co_u32_e32 v5, vcc, v7, v5, vcc
	global_load_dwordx2 v[4:5], v[4:5], off
	v_lshlrev_b64 v[6:7], 2, v[0:1]
	v_sub_u32_e32 v0, v12, v3
	v_sub_u32_e32 v3, v12, v9
	v_add_u32_e32 v10, 1, v2
	v_cmp_le_u32_e32 vcc, s8, v3
	v_cndmask_b32_e32 v2, v2, v10, vcc
	v_subrev_u32_e32 v10, s8, v3
	s_waitcnt lgkmcnt(0)
	v_mov_b32_e32 v12, s3
	v_cndmask_b32_e32 v3, v3, v10, vcc
	v_add_co_u32_e32 v6, vcc, s2, v6
	v_xor_b32_e32 v8, s0, v1
	v_subrev_u32_e32 v9, s11, v0
	v_cmp_le_u32_e64 s[0:1], s11, v0
	v_addc_co_u32_e32 v7, vcc, v12, v7, vcc
	v_cndmask_b32_e64 v0, v0, v9, s[0:1]
	v_add_u32_e32 v9, 1, v2
	v_cmp_le_u32_e32 vcc, s8, v3
	v_subrev_u32_e32 v10, s11, v0
	v_cndmask_b32_e32 v2, v2, v9, vcc
	v_cmp_le_u32_e32 vcc, s11, v0
	v_cndmask_b32_e32 v0, v0, v10, vcc
	v_xor_b32_e32 v2, v2, v8
	s_mul_i32 s4, s10, s9
	v_xor_b32_e32 v3, v0, v1
	v_sub_u32_e32 v0, v2, v8
	v_mul_lo_u32 v0, s4, v0
	s_ashr_i32 s5, s9, 31
	v_sub_u32_e32 v1, v3, v1
	v_ashrrev_i32_e32 v2, 31, v1
	v_lshlrev_b64 v[2:3], 2, v[1:2]
	v_ashrrev_i32_e32 v1, 31, v0
	v_lshlrev_b64 v[0:1], 2, v[0:1]
	v_mov_b32_e32 v11, s7
	v_add_co_u32_e32 v10, vcc, s6, v0
	v_addc_co_u32_e32 v11, vcc, v11, v1, vcc
	s_waitcnt vmcnt(0)
	v_mul_lo_u32 v8, v4, s5
	v_mul_lo_u32 v9, v5, s9
	v_mad_u64_u32 v[4:5], s[0:1], v4, s9, 0
	s_mov_b64 s[0:1], 0
	v_add3_u32 v5, v5, v8, v9
	v_lshlrev_b64 v[0:1], 2, v[4:5]
	v_add_co_u32_e32 v0, vcc, v10, v0
	v_addc_co_u32_e32 v1, vcc, v11, v1, vcc
	v_add_co_u32_e32 v0, vcc, v0, v2
	v_addc_co_u32_e32 v1, vcc, v1, v3, vcc
	global_load_dword v4, v[6:7], off
	global_load_dword v3, v[0:1], off glc
.LBB11_11:                              ; =>This Inner Loop Header: Depth=1
	s_waitcnt vmcnt(0)
	v_div_scale_f32 v2, s[2:3], v4, v4, v3
	v_div_scale_f32 v5, vcc, v3, v4, v3
	v_rcp_f32_e32 v6, v2
	v_fma_f32 v7, -v2, v6, 1.0
	v_fmac_f32_e32 v6, v7, v6
	v_mul_f32_e32 v7, v5, v6
	v_fma_f32 v8, -v2, v7, v5
	v_fmac_f32_e32 v7, v8, v6
	v_fma_f32 v2, -v2, v7, v5
	v_div_fmas_f32 v2, v2, v6, v7
	v_div_fixup_f32 v2, v2, v4, v3
	global_atomic_cmpswap v2, v[0:1], v[2:3], off glc
	s_waitcnt vmcnt(0)
	v_cmp_eq_u32_e32 vcc, v3, v2
	s_or_b64 s[0:1], vcc, s[0:1]
	v_mov_b32_e32 v3, v2
	s_andn2_b64 exec, exec, s[0:1]
	s_cbranch_execnz .LBB11_11
.LBB11_12:
	s_endpgm
	.section	.rodata,"a",@progbits
	.p2align	6, 0x0
	.amdhsa_kernel _Z14scatter_kernelIfL13ReductionType2EEvPKT_10TensorInfoIllEPS1_iiii
		.amdhsa_group_segment_fixed_size 0
		.amdhsa_private_segment_fixed_size 0
		.amdhsa_kernarg_size 704
		.amdhsa_user_sgpr_count 6
		.amdhsa_user_sgpr_private_segment_buffer 1
		.amdhsa_user_sgpr_dispatch_ptr 0
		.amdhsa_user_sgpr_queue_ptr 0
		.amdhsa_user_sgpr_kernarg_segment_ptr 1
		.amdhsa_user_sgpr_dispatch_id 0
		.amdhsa_user_sgpr_flat_scratch_init 0
		.amdhsa_user_sgpr_private_segment_size 0
		.amdhsa_uses_dynamic_stack 0
		.amdhsa_system_sgpr_private_segment_wavefront_offset 0
		.amdhsa_system_sgpr_workgroup_id_x 1
		.amdhsa_system_sgpr_workgroup_id_y 0
		.amdhsa_system_sgpr_workgroup_id_z 0
		.amdhsa_system_sgpr_workgroup_info 0
		.amdhsa_system_vgpr_workitem_id 0
		.amdhsa_next_free_vgpr 21
		.amdhsa_next_free_sgpr 29
		.amdhsa_reserve_vcc 1
		.amdhsa_reserve_flat_scratch 0
		.amdhsa_float_round_mode_32 0
		.amdhsa_float_round_mode_16_64 0
		.amdhsa_float_denorm_mode_32 3
		.amdhsa_float_denorm_mode_16_64 3
		.amdhsa_dx10_clamp 1
		.amdhsa_ieee_mode 1
		.amdhsa_fp16_overflow 0
		.amdhsa_exception_fp_ieee_invalid_op 0
		.amdhsa_exception_fp_denorm_src 0
		.amdhsa_exception_fp_ieee_div_zero 0
		.amdhsa_exception_fp_ieee_overflow 0
		.amdhsa_exception_fp_ieee_underflow 0
		.amdhsa_exception_fp_ieee_inexact 0
		.amdhsa_exception_int_div_zero 0
	.end_amdhsa_kernel
	.section	.text._Z14scatter_kernelIfL13ReductionType2EEvPKT_10TensorInfoIllEPS1_iiii,"axG",@progbits,_Z14scatter_kernelIfL13ReductionType2EEvPKT_10TensorInfoIllEPS1_iiii,comdat
.Lfunc_end11:
	.size	_Z14scatter_kernelIfL13ReductionType2EEvPKT_10TensorInfoIllEPS1_iiii, .Lfunc_end11-_Z14scatter_kernelIfL13ReductionType2EEvPKT_10TensorInfoIllEPS1_iiii
                                        ; -- End function
	.set _Z14scatter_kernelIfL13ReductionType2EEvPKT_10TensorInfoIllEPS1_iiii.num_vgpr, 21
	.set _Z14scatter_kernelIfL13ReductionType2EEvPKT_10TensorInfoIllEPS1_iiii.num_agpr, 0
	.set _Z14scatter_kernelIfL13ReductionType2EEvPKT_10TensorInfoIllEPS1_iiii.numbered_sgpr, 29
	.set _Z14scatter_kernelIfL13ReductionType2EEvPKT_10TensorInfoIllEPS1_iiii.num_named_barrier, 0
	.set _Z14scatter_kernelIfL13ReductionType2EEvPKT_10TensorInfoIllEPS1_iiii.private_seg_size, 0
	.set _Z14scatter_kernelIfL13ReductionType2EEvPKT_10TensorInfoIllEPS1_iiii.uses_vcc, 1
	.set _Z14scatter_kernelIfL13ReductionType2EEvPKT_10TensorInfoIllEPS1_iiii.uses_flat_scratch, 0
	.set _Z14scatter_kernelIfL13ReductionType2EEvPKT_10TensorInfoIllEPS1_iiii.has_dyn_sized_stack, 0
	.set _Z14scatter_kernelIfL13ReductionType2EEvPKT_10TensorInfoIllEPS1_iiii.has_recursion, 0
	.set _Z14scatter_kernelIfL13ReductionType2EEvPKT_10TensorInfoIllEPS1_iiii.has_indirect_call, 0
	.section	.AMDGPU.csdata,"",@progbits
; Kernel info:
; codeLenInByte = 1596
; TotalNumSgprs: 33
; NumVgprs: 21
; ScratchSize: 0
; MemoryBound: 0
; FloatMode: 240
; IeeeMode: 1
; LDSByteSize: 0 bytes/workgroup (compile time only)
; SGPRBlocks: 4
; VGPRBlocks: 5
; NumSGPRsForWavesPerEU: 33
; NumVGPRsForWavesPerEU: 21
; Occupancy: 10
; WaveLimiterHint : 1
; COMPUTE_PGM_RSRC2:SCRATCH_EN: 0
; COMPUTE_PGM_RSRC2:USER_SGPR: 6
; COMPUTE_PGM_RSRC2:TRAP_HANDLER: 0
; COMPUTE_PGM_RSRC2:TGID_X_EN: 1
; COMPUTE_PGM_RSRC2:TGID_Y_EN: 0
; COMPUTE_PGM_RSRC2:TGID_Z_EN: 0
; COMPUTE_PGM_RSRC2:TIDIG_COMP_CNT: 0
	.section	.text._Z14scatter_kernelIfL13ReductionType0EEvPKT_10TensorInfoIllEPS1_iiii,"axG",@progbits,_Z14scatter_kernelIfL13ReductionType0EEvPKT_10TensorInfoIllEPS1_iiii,comdat
	.protected	_Z14scatter_kernelIfL13ReductionType0EEvPKT_10TensorInfoIllEPS1_iiii ; -- Begin function _Z14scatter_kernelIfL13ReductionType0EEvPKT_10TensorInfoIllEPS1_iiii
	.globl	_Z14scatter_kernelIfL13ReductionType0EEvPKT_10TensorInfoIllEPS1_iiii
	.p2align	8
	.type	_Z14scatter_kernelIfL13ReductionType0EEvPKT_10TensorInfoIllEPS1_iiii,@function
_Z14scatter_kernelIfL13ReductionType0EEvPKT_10TensorInfoIllEPS1_iiii: ; @_Z14scatter_kernelIfL13ReductionType0EEvPKT_10TensorInfoIllEPS1_iiii
; %bb.0:
	s_load_dword s0, s[4:5], 0x1cc
	s_load_dwordx4 s[8:11], s[4:5], 0x1b0
	s_waitcnt lgkmcnt(0)
	s_and_b32 s0, s0, 0xffff
	s_mul_i32 s6, s6, s0
	v_add_u32_e32 v0, s6, v0
	v_cmp_gt_i32_e32 vcc, s11, v0
	s_and_saveexec_b64 s[0:1], vcc
	s_cbranch_execz .LBB12_12
; %bb.1:
	s_add_u32 s2, s4, 8
	s_addc_u32 s3, s5, 0
	s_abs_i32 s11, s9
	s_mul_i32 s20, s9, s8
	v_cvt_f32_u32_e32 v1, s11
	s_abs_i32 s8, s20
	v_cvt_f32_u32_e32 v2, s8
	s_sub_i32 s0, 0, s11
	v_rcp_iflag_f32_e32 v1, v1
	v_sub_u32_e32 v5, 0, v0
	v_rcp_iflag_f32_e32 v2, v2
	v_max_i32_e32 v12, v0, v5
	v_mul_f32_e32 v1, 0x4f7ffffe, v1
	v_cvt_u32_f32_e32 v1, v1
	v_mul_f32_e32 v2, 0x4f7ffffe, v2
	v_cvt_u32_f32_e32 v4, v2
	s_mov_b32 s1, 0
	v_mul_lo_u32 v2, s0, v1
	s_sub_i32 s0, 0, s8
	v_mul_lo_u32 v3, s0, v4
	s_load_dword s0, s[4:5], 0x1a0
	v_mul_hi_u32 v2, v1, v2
	v_mul_hi_u32 v5, v4, v3
	v_add_u32_e32 v1, v1, v2
	v_mad_u64_u32 v[2:3], s[6:7], v12, v1, 0
	v_add_u32_e32 v1, v4, v5
	v_mad_u64_u32 v[1:2], s[6:7], v12, v1, 0
	v_mov_b32_e32 v4, 0
	s_waitcnt lgkmcnt(0)
	s_cmp_lt_i32 s0, 2
	v_ashrrev_i32_e32 v1, 31, v0
	v_mov_b32_e32 v5, 0
	s_cbranch_scc1 .LBB12_9
; %bb.2:
	s_add_i32 s21, s0, 1
	s_add_i32 s0, s0, -1
	s_lshl_b64 s[0:1], s[0:1], 3
	s_add_u32 s0, s2, s0
	s_addc_u32 s1, s3, s1
	s_add_u32 s6, s0, 8
	v_mov_b32_e32 v4, 0
	v_mov_b32_e32 v9, v1
	s_addc_u32 s7, s1, 0
	v_mov_b32_e32 v5, 0
	v_mov_b32_e32 v6, 0
	;; [unrolled: 1-line block ×3, first 2 shown]
.LBB12_3:                               ; =>This Inner Loop Header: Depth=1
	s_load_dwordx2 s[12:13], s[6:7], 0x0
                                        ; implicit-def: $vgpr10_vgpr11
	s_waitcnt lgkmcnt(0)
	v_or_b32_e32 v7, s13, v9
	v_cmp_ne_u64_e32 vcc, 0, v[6:7]
	s_and_saveexec_b64 s[0:1], vcc
	s_xor_b64 s[14:15], exec, s[0:1]
	s_cbranch_execz .LBB12_5
; %bb.4:                                ;   in Loop: Header=BB12_3 Depth=1
	s_ashr_i32 s16, s13, 31
	s_add_u32 s0, s12, s16
	s_mov_b32 s17, s16
	s_addc_u32 s1, s13, s16
	s_xor_b64 s[18:19], s[0:1], s[16:17]
	v_cvt_f32_u32_e32 v7, s18
	v_cvt_f32_u32_e32 v10, s19
	s_sub_u32 s17, 0, s18
	s_subb_u32 s22, 0, s19
	v_mac_f32_e32 v7, 0x4f800000, v10
	v_rcp_f32_e32 v7, v7
	v_mul_f32_e32 v7, 0x5f7ffffc, v7
	v_mul_f32_e32 v10, 0x2f800000, v7
	v_trunc_f32_e32 v10, v10
	v_mac_f32_e32 v7, 0xcf800000, v10
	v_cvt_u32_f32_e32 v10, v10
	v_cvt_u32_f32_e32 v7, v7
	v_readfirstlane_b32 s23, v10
	v_readfirstlane_b32 s0, v7
	s_mul_i32 s1, s17, s23
	s_mul_hi_u32 s25, s17, s0
	s_mul_i32 s24, s22, s0
	s_add_i32 s1, s25, s1
	s_add_i32 s1, s1, s24
	s_mul_i32 s26, s17, s0
	s_mul_i32 s25, s0, s1
	s_mul_hi_u32 s27, s0, s26
	s_mul_hi_u32 s24, s0, s1
	s_add_u32 s25, s27, s25
	s_addc_u32 s24, 0, s24
	s_mul_hi_u32 s28, s23, s26
	s_mul_i32 s26, s23, s26
	s_add_u32 s25, s25, s26
	s_mul_hi_u32 s27, s23, s1
	s_addc_u32 s24, s24, s28
	s_addc_u32 s25, s27, 0
	s_mul_i32 s1, s23, s1
	s_add_u32 s1, s24, s1
	s_addc_u32 s24, 0, s25
	s_add_u32 s25, s0, s1
	s_cselect_b64 s[0:1], -1, 0
	s_cmp_lg_u64 s[0:1], 0
	s_addc_u32 s23, s23, s24
	s_mul_i32 s0, s17, s23
	s_mul_hi_u32 s1, s17, s25
	s_add_i32 s0, s1, s0
	s_mul_i32 s22, s22, s25
	s_add_i32 s0, s0, s22
	s_mul_i32 s17, s17, s25
	s_mul_hi_u32 s22, s23, s17
	s_mul_i32 s24, s23, s17
	s_mul_i32 s27, s25, s0
	s_mul_hi_u32 s17, s25, s17
	s_mul_hi_u32 s26, s25, s0
	s_add_u32 s17, s17, s27
	s_addc_u32 s26, 0, s26
	s_add_u32 s17, s17, s24
	s_mul_hi_u32 s1, s23, s0
	s_addc_u32 s17, s26, s22
	s_addc_u32 s1, s1, 0
	s_mul_i32 s0, s23, s0
	s_add_u32 s0, s17, s0
	s_addc_u32 s17, 0, s1
	s_add_u32 s22, s25, s0
	s_cselect_b64 s[0:1], -1, 0
	v_ashrrev_i32_e32 v7, 31, v9
	s_cmp_lg_u64 s[0:1], 0
	v_add_co_u32_e32 v10, vcc, v8, v7
	s_addc_u32 s17, s23, s17
	v_xor_b32_e32 v15, v10, v7
	v_mad_u64_u32 v[10:11], s[0:1], v15, s17, 0
	v_mul_hi_u32 v14, v15, s22
	v_addc_co_u32_e32 v13, vcc, v9, v7, vcc
	v_xor_b32_e32 v16, v13, v7
	v_add_co_u32_e32 v17, vcc, v14, v10
	v_addc_co_u32_e32 v18, vcc, 0, v11, vcc
	v_mad_u64_u32 v[10:11], s[0:1], v16, s22, 0
	v_mad_u64_u32 v[13:14], s[0:1], v16, s17, 0
	v_add_co_u32_e32 v10, vcc, v17, v10
	v_addc_co_u32_e32 v10, vcc, v18, v11, vcc
	v_addc_co_u32_e32 v11, vcc, 0, v14, vcc
	v_add_co_u32_e32 v13, vcc, v10, v13
	v_addc_co_u32_e32 v14, vcc, 0, v11, vcc
	v_mul_lo_u32 v17, s19, v13
	v_mul_lo_u32 v18, s18, v14
	v_mad_u64_u32 v[10:11], s[0:1], s18, v13, 0
	v_xor_b32_e32 v7, s16, v7
	v_add3_u32 v11, v11, v18, v17
	v_sub_u32_e32 v17, v16, v11
	v_mov_b32_e32 v18, s19
	v_sub_co_u32_e32 v10, vcc, v15, v10
	v_subb_co_u32_e64 v15, s[0:1], v17, v18, vcc
	v_subrev_co_u32_e64 v17, s[0:1], s18, v10
	v_subbrev_co_u32_e64 v15, s[0:1], 0, v15, s[0:1]
	v_cmp_le_u32_e64 s[0:1], s19, v15
	v_cndmask_b32_e64 v18, 0, -1, s[0:1]
	v_cmp_le_u32_e64 s[0:1], s18, v17
	v_cndmask_b32_e64 v17, 0, -1, s[0:1]
	v_cmp_eq_u32_e64 s[0:1], s19, v15
	v_cndmask_b32_e64 v15, v18, v17, s[0:1]
	v_add_co_u32_e64 v17, s[0:1], 2, v13
	v_subb_co_u32_e32 v11, vcc, v16, v11, vcc
	v_addc_co_u32_e64 v18, s[0:1], 0, v14, s[0:1]
	v_cmp_le_u32_e32 vcc, s19, v11
	v_add_co_u32_e64 v19, s[0:1], 1, v13
	v_cndmask_b32_e64 v16, 0, -1, vcc
	v_cmp_le_u32_e32 vcc, s18, v10
	v_addc_co_u32_e64 v20, s[0:1], 0, v14, s[0:1]
	v_cndmask_b32_e64 v10, 0, -1, vcc
	v_cmp_eq_u32_e32 vcc, s19, v11
	v_cmp_ne_u32_e64 s[0:1], 0, v15
	v_cndmask_b32_e32 v10, v16, v10, vcc
	v_cndmask_b32_e64 v15, v20, v18, s[0:1]
	v_cmp_ne_u32_e32 vcc, 0, v10
	v_cndmask_b32_e64 v11, v19, v17, s[0:1]
	v_cndmask_b32_e32 v10, v14, v15, vcc
	v_cndmask_b32_e32 v11, v13, v11, vcc
	v_xor_b32_e32 v13, v10, v7
	v_xor_b32_e32 v10, v11, v7
	v_sub_co_u32_e32 v10, vcc, v10, v7
	v_subb_co_u32_e32 v11, vcc, v13, v7, vcc
.LBB12_5:                               ;   in Loop: Header=BB12_3 Depth=1
	s_andn2_saveexec_b64 s[0:1], s[14:15]
	s_cbranch_execz .LBB12_7
; %bb.6:                                ;   in Loop: Header=BB12_3 Depth=1
	v_cvt_f32_u32_e32 v7, s12
	s_sub_i32 s14, 0, s12
	v_rcp_iflag_f32_e32 v7, v7
	v_mul_f32_e32 v7, 0x4f7ffffe, v7
	v_cvt_u32_f32_e32 v7, v7
	v_mul_lo_u32 v10, s14, v7
	v_mul_hi_u32 v10, v7, v10
	v_add_u32_e32 v7, v7, v10
	v_mul_hi_u32 v7, v8, v7
	v_mul_lo_u32 v10, v7, s12
	v_add_u32_e32 v11, 1, v7
	v_sub_u32_e32 v10, v8, v10
	v_subrev_u32_e32 v13, s12, v10
	v_cmp_le_u32_e32 vcc, s12, v10
	v_cndmask_b32_e32 v10, v10, v13, vcc
	v_cndmask_b32_e32 v7, v7, v11, vcc
	v_add_u32_e32 v11, 1, v7
	v_cmp_le_u32_e32 vcc, s12, v10
	v_cndmask_b32_e32 v10, v7, v11, vcc
	v_mov_b32_e32 v11, v6
.LBB12_7:                               ;   in Loop: Header=BB12_3 Depth=1
	s_or_b64 exec, exec, s[0:1]
	v_mul_lo_u32 v7, v11, s12
	v_mul_lo_u32 v15, v10, s13
	v_mad_u64_u32 v[13:14], s[0:1], v10, s12, 0
	s_load_dwordx2 s[0:1], s[6:7], 0xc8
	s_add_i32 s21, s21, -1
	v_add3_u32 v7, v14, v15, v7
	v_sub_co_u32_e32 v8, vcc, v8, v13
	v_subb_co_u32_e32 v7, vcc, v9, v7, vcc
	s_waitcnt lgkmcnt(0)
	v_mul_lo_u32 v7, s0, v7
	v_mul_lo_u32 v9, s1, v8
	v_mad_u64_u32 v[4:5], s[0:1], s0, v8, v[4:5]
	s_add_u32 s6, s6, -8
	s_addc_u32 s7, s7, -1
	s_cmp_gt_u32 s21, 2
	v_add3_u32 v5, v9, v5, v7
	s_cbranch_scc0 .LBB12_10
; %bb.8:                                ;   in Loop: Header=BB12_3 Depth=1
	v_mov_b32_e32 v8, v10
	v_mov_b32_e32 v9, v11
	s_branch .LBB12_3
.LBB12_9:
	v_mov_b32_e32 v11, v1
	v_mov_b32_e32 v10, v0
.LBB12_10:
	s_load_dwordx2 s[6:7], s[4:5], 0x1a8
	s_load_dword s1, s[2:3], 0xd0
	s_load_dwordx2 s[12:13], s[2:3], 0x0
	v_mul_lo_u32 v3, v3, s11
	v_mul_lo_u32 v9, v2, s8
	s_ashr_i32 s0, s20, 31
	s_waitcnt lgkmcnt(0)
	v_mad_u64_u32 v[4:5], s[2:3], s1, v10, v[4:5]
	v_mov_b32_e32 v5, 0
	v_mov_b32_e32 v7, s13
	;; [unrolled: 1-line block ×3, first 2 shown]
	v_ashrrev_i64 v[4:5], 29, v[5:6]
	s_load_dwordx2 s[2:3], s[4:5], 0x0
	v_add_co_u32_e32 v4, vcc, s12, v4
	v_addc_co_u32_e32 v5, vcc, v7, v5, vcc
	global_load_dwordx2 v[4:5], v[4:5], off
	v_lshlrev_b64 v[6:7], 2, v[0:1]
	v_sub_u32_e32 v0, v12, v3
	v_sub_u32_e32 v3, v12, v9
	v_add_u32_e32 v10, 1, v2
	v_cmp_le_u32_e32 vcc, s8, v3
	v_cndmask_b32_e32 v2, v2, v10, vcc
	v_subrev_u32_e32 v10, s8, v3
	s_waitcnt lgkmcnt(0)
	v_mov_b32_e32 v12, s3
	v_cndmask_b32_e32 v3, v3, v10, vcc
	v_add_co_u32_e32 v6, vcc, s2, v6
	v_xor_b32_e32 v8, s0, v1
	v_subrev_u32_e32 v9, s11, v0
	v_cmp_le_u32_e64 s[0:1], s11, v0
	v_addc_co_u32_e32 v7, vcc, v12, v7, vcc
	v_cndmask_b32_e64 v0, v0, v9, s[0:1]
	v_add_u32_e32 v9, 1, v2
	v_cmp_le_u32_e32 vcc, s8, v3
	v_subrev_u32_e32 v10, s11, v0
	v_cndmask_b32_e32 v2, v2, v9, vcc
	v_cmp_le_u32_e32 vcc, s11, v0
	v_cndmask_b32_e32 v0, v0, v10, vcc
	v_xor_b32_e32 v2, v2, v8
	s_mul_i32 s4, s10, s9
	v_xor_b32_e32 v3, v0, v1
	v_sub_u32_e32 v0, v2, v8
	v_mul_lo_u32 v0, s4, v0
	s_ashr_i32 s5, s9, 31
	v_sub_u32_e32 v1, v3, v1
	v_ashrrev_i32_e32 v2, 31, v1
	v_lshlrev_b64 v[2:3], 2, v[1:2]
	v_ashrrev_i32_e32 v1, 31, v0
	v_lshlrev_b64 v[0:1], 2, v[0:1]
	v_mov_b32_e32 v11, s7
	v_add_co_u32_e32 v10, vcc, s6, v0
	v_addc_co_u32_e32 v11, vcc, v11, v1, vcc
	s_waitcnt vmcnt(0)
	v_mul_lo_u32 v8, v4, s5
	v_mul_lo_u32 v9, v5, s9
	v_mad_u64_u32 v[4:5], s[0:1], v4, s9, 0
	s_mov_b64 s[0:1], 0
	v_add3_u32 v5, v5, v8, v9
	v_lshlrev_b64 v[0:1], 2, v[4:5]
	v_add_co_u32_e32 v0, vcc, v10, v0
	v_addc_co_u32_e32 v1, vcc, v11, v1, vcc
	v_add_co_u32_e32 v0, vcc, v0, v2
	v_addc_co_u32_e32 v1, vcc, v1, v3, vcc
	global_load_dword v4, v[6:7], off
	global_load_dword v3, v[0:1], off
.LBB12_11:                              ; =>This Inner Loop Header: Depth=1
	s_waitcnt vmcnt(0)
	v_add_f32_e32 v2, v3, v4
	global_atomic_cmpswap v2, v[0:1], v[2:3], off glc
	s_waitcnt vmcnt(0)
	v_cmp_eq_u32_e32 vcc, v2, v3
	s_or_b64 s[0:1], vcc, s[0:1]
	v_mov_b32_e32 v3, v2
	s_andn2_b64 exec, exec, s[0:1]
	s_cbranch_execnz .LBB12_11
.LBB12_12:
	s_endpgm
	.section	.rodata,"a",@progbits
	.p2align	6, 0x0
	.amdhsa_kernel _Z14scatter_kernelIfL13ReductionType0EEvPKT_10TensorInfoIllEPS1_iiii
		.amdhsa_group_segment_fixed_size 0
		.amdhsa_private_segment_fixed_size 0
		.amdhsa_kernarg_size 704
		.amdhsa_user_sgpr_count 6
		.amdhsa_user_sgpr_private_segment_buffer 1
		.amdhsa_user_sgpr_dispatch_ptr 0
		.amdhsa_user_sgpr_queue_ptr 0
		.amdhsa_user_sgpr_kernarg_segment_ptr 1
		.amdhsa_user_sgpr_dispatch_id 0
		.amdhsa_user_sgpr_flat_scratch_init 0
		.amdhsa_user_sgpr_private_segment_size 0
		.amdhsa_uses_dynamic_stack 0
		.amdhsa_system_sgpr_private_segment_wavefront_offset 0
		.amdhsa_system_sgpr_workgroup_id_x 1
		.amdhsa_system_sgpr_workgroup_id_y 0
		.amdhsa_system_sgpr_workgroup_id_z 0
		.amdhsa_system_sgpr_workgroup_info 0
		.amdhsa_system_vgpr_workitem_id 0
		.amdhsa_next_free_vgpr 21
		.amdhsa_next_free_sgpr 29
		.amdhsa_reserve_vcc 1
		.amdhsa_reserve_flat_scratch 0
		.amdhsa_float_round_mode_32 0
		.amdhsa_float_round_mode_16_64 0
		.amdhsa_float_denorm_mode_32 3
		.amdhsa_float_denorm_mode_16_64 3
		.amdhsa_dx10_clamp 1
		.amdhsa_ieee_mode 1
		.amdhsa_fp16_overflow 0
		.amdhsa_exception_fp_ieee_invalid_op 0
		.amdhsa_exception_fp_denorm_src 0
		.amdhsa_exception_fp_ieee_div_zero 0
		.amdhsa_exception_fp_ieee_overflow 0
		.amdhsa_exception_fp_ieee_underflow 0
		.amdhsa_exception_fp_ieee_inexact 0
		.amdhsa_exception_int_div_zero 0
	.end_amdhsa_kernel
	.section	.text._Z14scatter_kernelIfL13ReductionType0EEvPKT_10TensorInfoIllEPS1_iiii,"axG",@progbits,_Z14scatter_kernelIfL13ReductionType0EEvPKT_10TensorInfoIllEPS1_iiii,comdat
.Lfunc_end12:
	.size	_Z14scatter_kernelIfL13ReductionType0EEvPKT_10TensorInfoIllEPS1_iiii, .Lfunc_end12-_Z14scatter_kernelIfL13ReductionType0EEvPKT_10TensorInfoIllEPS1_iiii
                                        ; -- End function
	.set _Z14scatter_kernelIfL13ReductionType0EEvPKT_10TensorInfoIllEPS1_iiii.num_vgpr, 21
	.set _Z14scatter_kernelIfL13ReductionType0EEvPKT_10TensorInfoIllEPS1_iiii.num_agpr, 0
	.set _Z14scatter_kernelIfL13ReductionType0EEvPKT_10TensorInfoIllEPS1_iiii.numbered_sgpr, 29
	.set _Z14scatter_kernelIfL13ReductionType0EEvPKT_10TensorInfoIllEPS1_iiii.num_named_barrier, 0
	.set _Z14scatter_kernelIfL13ReductionType0EEvPKT_10TensorInfoIllEPS1_iiii.private_seg_size, 0
	.set _Z14scatter_kernelIfL13ReductionType0EEvPKT_10TensorInfoIllEPS1_iiii.uses_vcc, 1
	.set _Z14scatter_kernelIfL13ReductionType0EEvPKT_10TensorInfoIllEPS1_iiii.uses_flat_scratch, 0
	.set _Z14scatter_kernelIfL13ReductionType0EEvPKT_10TensorInfoIllEPS1_iiii.has_dyn_sized_stack, 0
	.set _Z14scatter_kernelIfL13ReductionType0EEvPKT_10TensorInfoIllEPS1_iiii.has_recursion, 0
	.set _Z14scatter_kernelIfL13ReductionType0EEvPKT_10TensorInfoIllEPS1_iiii.has_indirect_call, 0
	.section	.AMDGPU.csdata,"",@progbits
; Kernel info:
; codeLenInByte = 1528
; TotalNumSgprs: 33
; NumVgprs: 21
; ScratchSize: 0
; MemoryBound: 0
; FloatMode: 240
; IeeeMode: 1
; LDSByteSize: 0 bytes/workgroup (compile time only)
; SGPRBlocks: 4
; VGPRBlocks: 5
; NumSGPRsForWavesPerEU: 33
; NumVGPRsForWavesPerEU: 21
; Occupancy: 10
; WaveLimiterHint : 1
; COMPUTE_PGM_RSRC2:SCRATCH_EN: 0
; COMPUTE_PGM_RSRC2:USER_SGPR: 6
; COMPUTE_PGM_RSRC2:TRAP_HANDLER: 0
; COMPUTE_PGM_RSRC2:TGID_X_EN: 1
; COMPUTE_PGM_RSRC2:TGID_Y_EN: 0
; COMPUTE_PGM_RSRC2:TGID_Z_EN: 0
; COMPUTE_PGM_RSRC2:TIDIG_COMP_CNT: 0
	.section	.text._Z14scatter_kernelIfL13ReductionType3EEvPKT_10TensorInfoIllEPS1_iiii,"axG",@progbits,_Z14scatter_kernelIfL13ReductionType3EEvPKT_10TensorInfoIllEPS1_iiii,comdat
	.protected	_Z14scatter_kernelIfL13ReductionType3EEvPKT_10TensorInfoIllEPS1_iiii ; -- Begin function _Z14scatter_kernelIfL13ReductionType3EEvPKT_10TensorInfoIllEPS1_iiii
	.globl	_Z14scatter_kernelIfL13ReductionType3EEvPKT_10TensorInfoIllEPS1_iiii
	.p2align	8
	.type	_Z14scatter_kernelIfL13ReductionType3EEvPKT_10TensorInfoIllEPS1_iiii,@function
_Z14scatter_kernelIfL13ReductionType3EEvPKT_10TensorInfoIllEPS1_iiii: ; @_Z14scatter_kernelIfL13ReductionType3EEvPKT_10TensorInfoIllEPS1_iiii
; %bb.0:
	s_load_dword s0, s[4:5], 0x1cc
	s_load_dwordx4 s[8:11], s[4:5], 0x1b0
	s_waitcnt lgkmcnt(0)
	s_and_b32 s0, s0, 0xffff
	s_mul_i32 s6, s6, s0
	v_add_u32_e32 v0, s6, v0
	v_cmp_gt_i32_e32 vcc, s11, v0
	s_and_saveexec_b64 s[0:1], vcc
	s_cbranch_execz .LBB13_12
; %bb.1:
	s_add_u32 s2, s4, 8
	s_addc_u32 s3, s5, 0
	s_abs_i32 s11, s9
	s_mul_i32 s20, s9, s8
	v_cvt_f32_u32_e32 v1, s11
	s_abs_i32 s8, s20
	v_cvt_f32_u32_e32 v2, s8
	s_sub_i32 s0, 0, s11
	v_rcp_iflag_f32_e32 v1, v1
	v_sub_u32_e32 v5, 0, v0
	v_rcp_iflag_f32_e32 v2, v2
	v_max_i32_e32 v12, v0, v5
	v_mul_f32_e32 v1, 0x4f7ffffe, v1
	v_cvt_u32_f32_e32 v1, v1
	v_mul_f32_e32 v2, 0x4f7ffffe, v2
	v_cvt_u32_f32_e32 v4, v2
	s_mov_b32 s1, 0
	v_mul_lo_u32 v2, s0, v1
	s_sub_i32 s0, 0, s8
	v_mul_lo_u32 v3, s0, v4
	s_load_dword s0, s[4:5], 0x1a0
	v_mul_hi_u32 v2, v1, v2
	v_mul_hi_u32 v5, v4, v3
	v_add_u32_e32 v1, v1, v2
	v_mad_u64_u32 v[2:3], s[6:7], v12, v1, 0
	v_add_u32_e32 v1, v4, v5
	v_mad_u64_u32 v[1:2], s[6:7], v12, v1, 0
	v_mov_b32_e32 v4, 0
	s_waitcnt lgkmcnt(0)
	s_cmp_lt_i32 s0, 2
	v_ashrrev_i32_e32 v1, 31, v0
	v_mov_b32_e32 v5, 0
	s_cbranch_scc1 .LBB13_9
; %bb.2:
	s_add_i32 s21, s0, 1
	s_add_i32 s0, s0, -1
	s_lshl_b64 s[0:1], s[0:1], 3
	s_add_u32 s0, s2, s0
	s_addc_u32 s1, s3, s1
	s_add_u32 s6, s0, 8
	v_mov_b32_e32 v4, 0
	v_mov_b32_e32 v9, v1
	s_addc_u32 s7, s1, 0
	v_mov_b32_e32 v5, 0
	v_mov_b32_e32 v6, 0
	;; [unrolled: 1-line block ×3, first 2 shown]
.LBB13_3:                               ; =>This Inner Loop Header: Depth=1
	s_load_dwordx2 s[12:13], s[6:7], 0x0
                                        ; implicit-def: $vgpr10_vgpr11
	s_waitcnt lgkmcnt(0)
	v_or_b32_e32 v7, s13, v9
	v_cmp_ne_u64_e32 vcc, 0, v[6:7]
	s_and_saveexec_b64 s[0:1], vcc
	s_xor_b64 s[14:15], exec, s[0:1]
	s_cbranch_execz .LBB13_5
; %bb.4:                                ;   in Loop: Header=BB13_3 Depth=1
	s_ashr_i32 s16, s13, 31
	s_add_u32 s0, s12, s16
	s_mov_b32 s17, s16
	s_addc_u32 s1, s13, s16
	s_xor_b64 s[18:19], s[0:1], s[16:17]
	v_cvt_f32_u32_e32 v7, s18
	v_cvt_f32_u32_e32 v10, s19
	s_sub_u32 s17, 0, s18
	s_subb_u32 s22, 0, s19
	v_mac_f32_e32 v7, 0x4f800000, v10
	v_rcp_f32_e32 v7, v7
	v_mul_f32_e32 v7, 0x5f7ffffc, v7
	v_mul_f32_e32 v10, 0x2f800000, v7
	v_trunc_f32_e32 v10, v10
	v_mac_f32_e32 v7, 0xcf800000, v10
	v_cvt_u32_f32_e32 v10, v10
	v_cvt_u32_f32_e32 v7, v7
	v_readfirstlane_b32 s23, v10
	v_readfirstlane_b32 s0, v7
	s_mul_i32 s1, s17, s23
	s_mul_hi_u32 s25, s17, s0
	s_mul_i32 s24, s22, s0
	s_add_i32 s1, s25, s1
	s_add_i32 s1, s1, s24
	s_mul_i32 s26, s17, s0
	s_mul_i32 s25, s0, s1
	s_mul_hi_u32 s27, s0, s26
	s_mul_hi_u32 s24, s0, s1
	s_add_u32 s25, s27, s25
	s_addc_u32 s24, 0, s24
	s_mul_hi_u32 s28, s23, s26
	s_mul_i32 s26, s23, s26
	s_add_u32 s25, s25, s26
	s_mul_hi_u32 s27, s23, s1
	s_addc_u32 s24, s24, s28
	s_addc_u32 s25, s27, 0
	s_mul_i32 s1, s23, s1
	s_add_u32 s1, s24, s1
	s_addc_u32 s24, 0, s25
	s_add_u32 s25, s0, s1
	s_cselect_b64 s[0:1], -1, 0
	s_cmp_lg_u64 s[0:1], 0
	s_addc_u32 s23, s23, s24
	s_mul_i32 s0, s17, s23
	s_mul_hi_u32 s1, s17, s25
	s_add_i32 s0, s1, s0
	s_mul_i32 s22, s22, s25
	s_add_i32 s0, s0, s22
	s_mul_i32 s17, s17, s25
	s_mul_hi_u32 s22, s23, s17
	s_mul_i32 s24, s23, s17
	s_mul_i32 s27, s25, s0
	s_mul_hi_u32 s17, s25, s17
	s_mul_hi_u32 s26, s25, s0
	s_add_u32 s17, s17, s27
	s_addc_u32 s26, 0, s26
	s_add_u32 s17, s17, s24
	s_mul_hi_u32 s1, s23, s0
	s_addc_u32 s17, s26, s22
	s_addc_u32 s1, s1, 0
	s_mul_i32 s0, s23, s0
	s_add_u32 s0, s17, s0
	s_addc_u32 s17, 0, s1
	s_add_u32 s22, s25, s0
	s_cselect_b64 s[0:1], -1, 0
	v_ashrrev_i32_e32 v7, 31, v9
	s_cmp_lg_u64 s[0:1], 0
	v_add_co_u32_e32 v10, vcc, v8, v7
	s_addc_u32 s17, s23, s17
	v_xor_b32_e32 v15, v10, v7
	v_mad_u64_u32 v[10:11], s[0:1], v15, s17, 0
	v_mul_hi_u32 v14, v15, s22
	v_addc_co_u32_e32 v13, vcc, v9, v7, vcc
	v_xor_b32_e32 v16, v13, v7
	v_add_co_u32_e32 v17, vcc, v14, v10
	v_addc_co_u32_e32 v18, vcc, 0, v11, vcc
	v_mad_u64_u32 v[10:11], s[0:1], v16, s22, 0
	v_mad_u64_u32 v[13:14], s[0:1], v16, s17, 0
	v_add_co_u32_e32 v10, vcc, v17, v10
	v_addc_co_u32_e32 v10, vcc, v18, v11, vcc
	v_addc_co_u32_e32 v11, vcc, 0, v14, vcc
	v_add_co_u32_e32 v13, vcc, v10, v13
	v_addc_co_u32_e32 v14, vcc, 0, v11, vcc
	v_mul_lo_u32 v17, s19, v13
	v_mul_lo_u32 v18, s18, v14
	v_mad_u64_u32 v[10:11], s[0:1], s18, v13, 0
	v_xor_b32_e32 v7, s16, v7
	v_add3_u32 v11, v11, v18, v17
	v_sub_u32_e32 v17, v16, v11
	v_mov_b32_e32 v18, s19
	v_sub_co_u32_e32 v10, vcc, v15, v10
	v_subb_co_u32_e64 v15, s[0:1], v17, v18, vcc
	v_subrev_co_u32_e64 v17, s[0:1], s18, v10
	v_subbrev_co_u32_e64 v15, s[0:1], 0, v15, s[0:1]
	v_cmp_le_u32_e64 s[0:1], s19, v15
	v_cndmask_b32_e64 v18, 0, -1, s[0:1]
	v_cmp_le_u32_e64 s[0:1], s18, v17
	v_cndmask_b32_e64 v17, 0, -1, s[0:1]
	v_cmp_eq_u32_e64 s[0:1], s19, v15
	v_cndmask_b32_e64 v15, v18, v17, s[0:1]
	v_add_co_u32_e64 v17, s[0:1], 2, v13
	v_subb_co_u32_e32 v11, vcc, v16, v11, vcc
	v_addc_co_u32_e64 v18, s[0:1], 0, v14, s[0:1]
	v_cmp_le_u32_e32 vcc, s19, v11
	v_add_co_u32_e64 v19, s[0:1], 1, v13
	v_cndmask_b32_e64 v16, 0, -1, vcc
	v_cmp_le_u32_e32 vcc, s18, v10
	v_addc_co_u32_e64 v20, s[0:1], 0, v14, s[0:1]
	v_cndmask_b32_e64 v10, 0, -1, vcc
	v_cmp_eq_u32_e32 vcc, s19, v11
	v_cmp_ne_u32_e64 s[0:1], 0, v15
	v_cndmask_b32_e32 v10, v16, v10, vcc
	v_cndmask_b32_e64 v15, v20, v18, s[0:1]
	v_cmp_ne_u32_e32 vcc, 0, v10
	v_cndmask_b32_e64 v11, v19, v17, s[0:1]
	v_cndmask_b32_e32 v10, v14, v15, vcc
	v_cndmask_b32_e32 v11, v13, v11, vcc
	v_xor_b32_e32 v13, v10, v7
	v_xor_b32_e32 v10, v11, v7
	v_sub_co_u32_e32 v10, vcc, v10, v7
	v_subb_co_u32_e32 v11, vcc, v13, v7, vcc
.LBB13_5:                               ;   in Loop: Header=BB13_3 Depth=1
	s_andn2_saveexec_b64 s[0:1], s[14:15]
	s_cbranch_execz .LBB13_7
; %bb.6:                                ;   in Loop: Header=BB13_3 Depth=1
	v_cvt_f32_u32_e32 v7, s12
	s_sub_i32 s14, 0, s12
	v_rcp_iflag_f32_e32 v7, v7
	v_mul_f32_e32 v7, 0x4f7ffffe, v7
	v_cvt_u32_f32_e32 v7, v7
	v_mul_lo_u32 v10, s14, v7
	v_mul_hi_u32 v10, v7, v10
	v_add_u32_e32 v7, v7, v10
	v_mul_hi_u32 v7, v8, v7
	v_mul_lo_u32 v10, v7, s12
	v_add_u32_e32 v11, 1, v7
	v_sub_u32_e32 v10, v8, v10
	v_subrev_u32_e32 v13, s12, v10
	v_cmp_le_u32_e32 vcc, s12, v10
	v_cndmask_b32_e32 v10, v10, v13, vcc
	v_cndmask_b32_e32 v7, v7, v11, vcc
	v_add_u32_e32 v11, 1, v7
	v_cmp_le_u32_e32 vcc, s12, v10
	v_cndmask_b32_e32 v10, v7, v11, vcc
	v_mov_b32_e32 v11, v6
.LBB13_7:                               ;   in Loop: Header=BB13_3 Depth=1
	s_or_b64 exec, exec, s[0:1]
	v_mul_lo_u32 v7, v11, s12
	v_mul_lo_u32 v15, v10, s13
	v_mad_u64_u32 v[13:14], s[0:1], v10, s12, 0
	s_load_dwordx2 s[0:1], s[6:7], 0xc8
	s_add_i32 s21, s21, -1
	v_add3_u32 v7, v14, v15, v7
	v_sub_co_u32_e32 v8, vcc, v8, v13
	v_subb_co_u32_e32 v7, vcc, v9, v7, vcc
	s_waitcnt lgkmcnt(0)
	v_mul_lo_u32 v7, s0, v7
	v_mul_lo_u32 v9, s1, v8
	v_mad_u64_u32 v[4:5], s[0:1], s0, v8, v[4:5]
	s_add_u32 s6, s6, -8
	s_addc_u32 s7, s7, -1
	s_cmp_gt_u32 s21, 2
	v_add3_u32 v5, v9, v5, v7
	s_cbranch_scc0 .LBB13_10
; %bb.8:                                ;   in Loop: Header=BB13_3 Depth=1
	v_mov_b32_e32 v8, v10
	v_mov_b32_e32 v9, v11
	s_branch .LBB13_3
.LBB13_9:
	v_mov_b32_e32 v11, v1
	v_mov_b32_e32 v10, v0
.LBB13_10:
	s_load_dwordx2 s[6:7], s[4:5], 0x1a8
	s_load_dword s1, s[2:3], 0xd0
	s_load_dwordx2 s[12:13], s[2:3], 0x0
	v_mul_lo_u32 v3, v3, s11
	v_mul_lo_u32 v9, v2, s8
	s_ashr_i32 s0, s20, 31
	s_waitcnt lgkmcnt(0)
	v_mad_u64_u32 v[4:5], s[2:3], s1, v10, v[4:5]
	v_mov_b32_e32 v5, 0
	v_mov_b32_e32 v7, s13
	;; [unrolled: 1-line block ×3, first 2 shown]
	v_ashrrev_i64 v[4:5], 29, v[5:6]
	s_load_dwordx2 s[2:3], s[4:5], 0x0
	v_add_co_u32_e32 v4, vcc, s12, v4
	v_addc_co_u32_e32 v5, vcc, v7, v5, vcc
	global_load_dwordx2 v[4:5], v[4:5], off
	v_lshlrev_b64 v[6:7], 2, v[0:1]
	v_sub_u32_e32 v0, v12, v3
	v_sub_u32_e32 v3, v12, v9
	v_add_u32_e32 v10, 1, v2
	v_cmp_le_u32_e32 vcc, s8, v3
	v_cndmask_b32_e32 v2, v2, v10, vcc
	v_subrev_u32_e32 v10, s8, v3
	s_waitcnt lgkmcnt(0)
	v_mov_b32_e32 v12, s3
	v_cndmask_b32_e32 v3, v3, v10, vcc
	v_add_co_u32_e32 v6, vcc, s2, v6
	v_xor_b32_e32 v8, s0, v1
	v_subrev_u32_e32 v9, s11, v0
	v_cmp_le_u32_e64 s[0:1], s11, v0
	v_addc_co_u32_e32 v7, vcc, v12, v7, vcc
	v_cndmask_b32_e64 v0, v0, v9, s[0:1]
	v_add_u32_e32 v9, 1, v2
	v_cmp_le_u32_e32 vcc, s8, v3
	v_subrev_u32_e32 v10, s11, v0
	v_cndmask_b32_e32 v2, v2, v9, vcc
	v_cmp_le_u32_e32 vcc, s11, v0
	v_cndmask_b32_e32 v0, v0, v10, vcc
	v_xor_b32_e32 v2, v2, v8
	s_mul_i32 s4, s10, s9
	v_xor_b32_e32 v3, v0, v1
	v_sub_u32_e32 v0, v2, v8
	v_mul_lo_u32 v0, s4, v0
	s_ashr_i32 s5, s9, 31
	v_sub_u32_e32 v1, v3, v1
	v_ashrrev_i32_e32 v2, 31, v1
	v_lshlrev_b64 v[2:3], 2, v[1:2]
	v_ashrrev_i32_e32 v1, 31, v0
	v_lshlrev_b64 v[0:1], 2, v[0:1]
	v_mov_b32_e32 v11, s7
	v_add_co_u32_e32 v10, vcc, s6, v0
	v_addc_co_u32_e32 v11, vcc, v11, v1, vcc
	s_waitcnt vmcnt(0)
	v_mul_lo_u32 v8, v4, s5
	v_mul_lo_u32 v9, v5, s9
	v_mad_u64_u32 v[4:5], s[0:1], v4, s9, 0
	s_mov_b64 s[0:1], 0
	v_add3_u32 v5, v5, v8, v9
	v_lshlrev_b64 v[0:1], 2, v[4:5]
	v_add_co_u32_e32 v0, vcc, v10, v0
	v_addc_co_u32_e32 v1, vcc, v11, v1, vcc
	v_add_co_u32_e32 v0, vcc, v0, v2
	v_addc_co_u32_e32 v1, vcc, v1, v3, vcc
	global_load_dword v4, v[6:7], off
	global_load_dword v3, v[0:1], off glc
.LBB13_11:                              ; =>This Inner Loop Header: Depth=1
	s_waitcnt vmcnt(1)
	v_max_f32_e32 v2, v4, v4
	s_waitcnt vmcnt(0)
	v_max_f32_e32 v5, v3, v3
	v_min_f32_e32 v2, v5, v2
	global_atomic_cmpswap v2, v[0:1], v[2:3], off glc
	s_waitcnt vmcnt(0)
	v_cmp_eq_u32_e32 vcc, v3, v2
	s_or_b64 s[0:1], vcc, s[0:1]
	v_mov_b32_e32 v3, v2
	s_andn2_b64 exec, exec, s[0:1]
	s_cbranch_execnz .LBB13_11
.LBB13_12:
	s_endpgm
	.section	.rodata,"a",@progbits
	.p2align	6, 0x0
	.amdhsa_kernel _Z14scatter_kernelIfL13ReductionType3EEvPKT_10TensorInfoIllEPS1_iiii
		.amdhsa_group_segment_fixed_size 0
		.amdhsa_private_segment_fixed_size 0
		.amdhsa_kernarg_size 704
		.amdhsa_user_sgpr_count 6
		.amdhsa_user_sgpr_private_segment_buffer 1
		.amdhsa_user_sgpr_dispatch_ptr 0
		.amdhsa_user_sgpr_queue_ptr 0
		.amdhsa_user_sgpr_kernarg_segment_ptr 1
		.amdhsa_user_sgpr_dispatch_id 0
		.amdhsa_user_sgpr_flat_scratch_init 0
		.amdhsa_user_sgpr_private_segment_size 0
		.amdhsa_uses_dynamic_stack 0
		.amdhsa_system_sgpr_private_segment_wavefront_offset 0
		.amdhsa_system_sgpr_workgroup_id_x 1
		.amdhsa_system_sgpr_workgroup_id_y 0
		.amdhsa_system_sgpr_workgroup_id_z 0
		.amdhsa_system_sgpr_workgroup_info 0
		.amdhsa_system_vgpr_workitem_id 0
		.amdhsa_next_free_vgpr 21
		.amdhsa_next_free_sgpr 29
		.amdhsa_reserve_vcc 1
		.amdhsa_reserve_flat_scratch 0
		.amdhsa_float_round_mode_32 0
		.amdhsa_float_round_mode_16_64 0
		.amdhsa_float_denorm_mode_32 3
		.amdhsa_float_denorm_mode_16_64 3
		.amdhsa_dx10_clamp 1
		.amdhsa_ieee_mode 1
		.amdhsa_fp16_overflow 0
		.amdhsa_exception_fp_ieee_invalid_op 0
		.amdhsa_exception_fp_denorm_src 0
		.amdhsa_exception_fp_ieee_div_zero 0
		.amdhsa_exception_fp_ieee_overflow 0
		.amdhsa_exception_fp_ieee_underflow 0
		.amdhsa_exception_fp_ieee_inexact 0
		.amdhsa_exception_int_div_zero 0
	.end_amdhsa_kernel
	.section	.text._Z14scatter_kernelIfL13ReductionType3EEvPKT_10TensorInfoIllEPS1_iiii,"axG",@progbits,_Z14scatter_kernelIfL13ReductionType3EEvPKT_10TensorInfoIllEPS1_iiii,comdat
.Lfunc_end13:
	.size	_Z14scatter_kernelIfL13ReductionType3EEvPKT_10TensorInfoIllEPS1_iiii, .Lfunc_end13-_Z14scatter_kernelIfL13ReductionType3EEvPKT_10TensorInfoIllEPS1_iiii
                                        ; -- End function
	.set _Z14scatter_kernelIfL13ReductionType3EEvPKT_10TensorInfoIllEPS1_iiii.num_vgpr, 21
	.set _Z14scatter_kernelIfL13ReductionType3EEvPKT_10TensorInfoIllEPS1_iiii.num_agpr, 0
	.set _Z14scatter_kernelIfL13ReductionType3EEvPKT_10TensorInfoIllEPS1_iiii.numbered_sgpr, 29
	.set _Z14scatter_kernelIfL13ReductionType3EEvPKT_10TensorInfoIllEPS1_iiii.num_named_barrier, 0
	.set _Z14scatter_kernelIfL13ReductionType3EEvPKT_10TensorInfoIllEPS1_iiii.private_seg_size, 0
	.set _Z14scatter_kernelIfL13ReductionType3EEvPKT_10TensorInfoIllEPS1_iiii.uses_vcc, 1
	.set _Z14scatter_kernelIfL13ReductionType3EEvPKT_10TensorInfoIllEPS1_iiii.uses_flat_scratch, 0
	.set _Z14scatter_kernelIfL13ReductionType3EEvPKT_10TensorInfoIllEPS1_iiii.has_dyn_sized_stack, 0
	.set _Z14scatter_kernelIfL13ReductionType3EEvPKT_10TensorInfoIllEPS1_iiii.has_recursion, 0
	.set _Z14scatter_kernelIfL13ReductionType3EEvPKT_10TensorInfoIllEPS1_iiii.has_indirect_call, 0
	.section	.AMDGPU.csdata,"",@progbits
; Kernel info:
; codeLenInByte = 1540
; TotalNumSgprs: 33
; NumVgprs: 21
; ScratchSize: 0
; MemoryBound: 0
; FloatMode: 240
; IeeeMode: 1
; LDSByteSize: 0 bytes/workgroup (compile time only)
; SGPRBlocks: 4
; VGPRBlocks: 5
; NumSGPRsForWavesPerEU: 33
; NumVGPRsForWavesPerEU: 21
; Occupancy: 10
; WaveLimiterHint : 1
; COMPUTE_PGM_RSRC2:SCRATCH_EN: 0
; COMPUTE_PGM_RSRC2:USER_SGPR: 6
; COMPUTE_PGM_RSRC2:TRAP_HANDLER: 0
; COMPUTE_PGM_RSRC2:TGID_X_EN: 1
; COMPUTE_PGM_RSRC2:TGID_Y_EN: 0
; COMPUTE_PGM_RSRC2:TGID_Z_EN: 0
; COMPUTE_PGM_RSRC2:TIDIG_COMP_CNT: 0
	.section	.text._Z14scatter_kernelIfL13ReductionType4EEvPKT_10TensorInfoIllEPS1_iiii,"axG",@progbits,_Z14scatter_kernelIfL13ReductionType4EEvPKT_10TensorInfoIllEPS1_iiii,comdat
	.protected	_Z14scatter_kernelIfL13ReductionType4EEvPKT_10TensorInfoIllEPS1_iiii ; -- Begin function _Z14scatter_kernelIfL13ReductionType4EEvPKT_10TensorInfoIllEPS1_iiii
	.globl	_Z14scatter_kernelIfL13ReductionType4EEvPKT_10TensorInfoIllEPS1_iiii
	.p2align	8
	.type	_Z14scatter_kernelIfL13ReductionType4EEvPKT_10TensorInfoIllEPS1_iiii,@function
_Z14scatter_kernelIfL13ReductionType4EEvPKT_10TensorInfoIllEPS1_iiii: ; @_Z14scatter_kernelIfL13ReductionType4EEvPKT_10TensorInfoIllEPS1_iiii
; %bb.0:
	s_load_dword s0, s[4:5], 0x1cc
	s_load_dwordx4 s[8:11], s[4:5], 0x1b0
	s_waitcnt lgkmcnt(0)
	s_and_b32 s0, s0, 0xffff
	s_mul_i32 s6, s6, s0
	v_add_u32_e32 v0, s6, v0
	v_cmp_gt_i32_e32 vcc, s11, v0
	s_and_saveexec_b64 s[0:1], vcc
	s_cbranch_execz .LBB14_12
; %bb.1:
	s_add_u32 s2, s4, 8
	s_addc_u32 s3, s5, 0
	s_abs_i32 s11, s9
	s_mul_i32 s20, s9, s8
	v_cvt_f32_u32_e32 v1, s11
	s_abs_i32 s8, s20
	v_cvt_f32_u32_e32 v2, s8
	s_sub_i32 s0, 0, s11
	v_rcp_iflag_f32_e32 v1, v1
	v_sub_u32_e32 v5, 0, v0
	v_rcp_iflag_f32_e32 v2, v2
	v_max_i32_e32 v12, v0, v5
	v_mul_f32_e32 v1, 0x4f7ffffe, v1
	v_cvt_u32_f32_e32 v1, v1
	v_mul_f32_e32 v2, 0x4f7ffffe, v2
	v_cvt_u32_f32_e32 v4, v2
	s_mov_b32 s1, 0
	v_mul_lo_u32 v2, s0, v1
	s_sub_i32 s0, 0, s8
	v_mul_lo_u32 v3, s0, v4
	s_load_dword s0, s[4:5], 0x1a0
	v_mul_hi_u32 v2, v1, v2
	v_mul_hi_u32 v5, v4, v3
	v_add_u32_e32 v1, v1, v2
	v_mad_u64_u32 v[2:3], s[6:7], v12, v1, 0
	v_add_u32_e32 v1, v4, v5
	v_mad_u64_u32 v[1:2], s[6:7], v12, v1, 0
	v_mov_b32_e32 v4, 0
	s_waitcnt lgkmcnt(0)
	s_cmp_lt_i32 s0, 2
	v_ashrrev_i32_e32 v1, 31, v0
	v_mov_b32_e32 v5, 0
	s_cbranch_scc1 .LBB14_9
; %bb.2:
	s_add_i32 s21, s0, 1
	s_add_i32 s0, s0, -1
	s_lshl_b64 s[0:1], s[0:1], 3
	s_add_u32 s0, s2, s0
	s_addc_u32 s1, s3, s1
	s_add_u32 s6, s0, 8
	v_mov_b32_e32 v4, 0
	v_mov_b32_e32 v9, v1
	s_addc_u32 s7, s1, 0
	v_mov_b32_e32 v5, 0
	v_mov_b32_e32 v6, 0
	;; [unrolled: 1-line block ×3, first 2 shown]
.LBB14_3:                               ; =>This Inner Loop Header: Depth=1
	s_load_dwordx2 s[12:13], s[6:7], 0x0
                                        ; implicit-def: $vgpr10_vgpr11
	s_waitcnt lgkmcnt(0)
	v_or_b32_e32 v7, s13, v9
	v_cmp_ne_u64_e32 vcc, 0, v[6:7]
	s_and_saveexec_b64 s[0:1], vcc
	s_xor_b64 s[14:15], exec, s[0:1]
	s_cbranch_execz .LBB14_5
; %bb.4:                                ;   in Loop: Header=BB14_3 Depth=1
	s_ashr_i32 s16, s13, 31
	s_add_u32 s0, s12, s16
	s_mov_b32 s17, s16
	s_addc_u32 s1, s13, s16
	s_xor_b64 s[18:19], s[0:1], s[16:17]
	v_cvt_f32_u32_e32 v7, s18
	v_cvt_f32_u32_e32 v10, s19
	s_sub_u32 s17, 0, s18
	s_subb_u32 s22, 0, s19
	v_mac_f32_e32 v7, 0x4f800000, v10
	v_rcp_f32_e32 v7, v7
	v_mul_f32_e32 v7, 0x5f7ffffc, v7
	v_mul_f32_e32 v10, 0x2f800000, v7
	v_trunc_f32_e32 v10, v10
	v_mac_f32_e32 v7, 0xcf800000, v10
	v_cvt_u32_f32_e32 v10, v10
	v_cvt_u32_f32_e32 v7, v7
	v_readfirstlane_b32 s23, v10
	v_readfirstlane_b32 s0, v7
	s_mul_i32 s1, s17, s23
	s_mul_hi_u32 s25, s17, s0
	s_mul_i32 s24, s22, s0
	s_add_i32 s1, s25, s1
	s_add_i32 s1, s1, s24
	s_mul_i32 s26, s17, s0
	s_mul_i32 s25, s0, s1
	s_mul_hi_u32 s27, s0, s26
	s_mul_hi_u32 s24, s0, s1
	s_add_u32 s25, s27, s25
	s_addc_u32 s24, 0, s24
	s_mul_hi_u32 s28, s23, s26
	s_mul_i32 s26, s23, s26
	s_add_u32 s25, s25, s26
	s_mul_hi_u32 s27, s23, s1
	s_addc_u32 s24, s24, s28
	s_addc_u32 s25, s27, 0
	s_mul_i32 s1, s23, s1
	s_add_u32 s1, s24, s1
	s_addc_u32 s24, 0, s25
	s_add_u32 s25, s0, s1
	s_cselect_b64 s[0:1], -1, 0
	s_cmp_lg_u64 s[0:1], 0
	s_addc_u32 s23, s23, s24
	s_mul_i32 s0, s17, s23
	s_mul_hi_u32 s1, s17, s25
	s_add_i32 s0, s1, s0
	s_mul_i32 s22, s22, s25
	s_add_i32 s0, s0, s22
	s_mul_i32 s17, s17, s25
	s_mul_hi_u32 s22, s23, s17
	s_mul_i32 s24, s23, s17
	s_mul_i32 s27, s25, s0
	s_mul_hi_u32 s17, s25, s17
	s_mul_hi_u32 s26, s25, s0
	s_add_u32 s17, s17, s27
	s_addc_u32 s26, 0, s26
	s_add_u32 s17, s17, s24
	s_mul_hi_u32 s1, s23, s0
	s_addc_u32 s17, s26, s22
	s_addc_u32 s1, s1, 0
	s_mul_i32 s0, s23, s0
	s_add_u32 s0, s17, s0
	s_addc_u32 s17, 0, s1
	s_add_u32 s22, s25, s0
	s_cselect_b64 s[0:1], -1, 0
	v_ashrrev_i32_e32 v7, 31, v9
	s_cmp_lg_u64 s[0:1], 0
	v_add_co_u32_e32 v10, vcc, v8, v7
	s_addc_u32 s17, s23, s17
	v_xor_b32_e32 v15, v10, v7
	v_mad_u64_u32 v[10:11], s[0:1], v15, s17, 0
	v_mul_hi_u32 v14, v15, s22
	v_addc_co_u32_e32 v13, vcc, v9, v7, vcc
	v_xor_b32_e32 v16, v13, v7
	v_add_co_u32_e32 v17, vcc, v14, v10
	v_addc_co_u32_e32 v18, vcc, 0, v11, vcc
	v_mad_u64_u32 v[10:11], s[0:1], v16, s22, 0
	v_mad_u64_u32 v[13:14], s[0:1], v16, s17, 0
	v_add_co_u32_e32 v10, vcc, v17, v10
	v_addc_co_u32_e32 v10, vcc, v18, v11, vcc
	v_addc_co_u32_e32 v11, vcc, 0, v14, vcc
	v_add_co_u32_e32 v13, vcc, v10, v13
	v_addc_co_u32_e32 v14, vcc, 0, v11, vcc
	v_mul_lo_u32 v17, s19, v13
	v_mul_lo_u32 v18, s18, v14
	v_mad_u64_u32 v[10:11], s[0:1], s18, v13, 0
	v_xor_b32_e32 v7, s16, v7
	v_add3_u32 v11, v11, v18, v17
	v_sub_u32_e32 v17, v16, v11
	v_mov_b32_e32 v18, s19
	v_sub_co_u32_e32 v10, vcc, v15, v10
	v_subb_co_u32_e64 v15, s[0:1], v17, v18, vcc
	v_subrev_co_u32_e64 v17, s[0:1], s18, v10
	v_subbrev_co_u32_e64 v15, s[0:1], 0, v15, s[0:1]
	v_cmp_le_u32_e64 s[0:1], s19, v15
	v_cndmask_b32_e64 v18, 0, -1, s[0:1]
	v_cmp_le_u32_e64 s[0:1], s18, v17
	v_cndmask_b32_e64 v17, 0, -1, s[0:1]
	v_cmp_eq_u32_e64 s[0:1], s19, v15
	v_cndmask_b32_e64 v15, v18, v17, s[0:1]
	v_add_co_u32_e64 v17, s[0:1], 2, v13
	v_subb_co_u32_e32 v11, vcc, v16, v11, vcc
	v_addc_co_u32_e64 v18, s[0:1], 0, v14, s[0:1]
	v_cmp_le_u32_e32 vcc, s19, v11
	v_add_co_u32_e64 v19, s[0:1], 1, v13
	v_cndmask_b32_e64 v16, 0, -1, vcc
	v_cmp_le_u32_e32 vcc, s18, v10
	v_addc_co_u32_e64 v20, s[0:1], 0, v14, s[0:1]
	v_cndmask_b32_e64 v10, 0, -1, vcc
	v_cmp_eq_u32_e32 vcc, s19, v11
	v_cmp_ne_u32_e64 s[0:1], 0, v15
	v_cndmask_b32_e32 v10, v16, v10, vcc
	v_cndmask_b32_e64 v15, v20, v18, s[0:1]
	v_cmp_ne_u32_e32 vcc, 0, v10
	v_cndmask_b32_e64 v11, v19, v17, s[0:1]
	v_cndmask_b32_e32 v10, v14, v15, vcc
	v_cndmask_b32_e32 v11, v13, v11, vcc
	v_xor_b32_e32 v13, v10, v7
	v_xor_b32_e32 v10, v11, v7
	v_sub_co_u32_e32 v10, vcc, v10, v7
	v_subb_co_u32_e32 v11, vcc, v13, v7, vcc
.LBB14_5:                               ;   in Loop: Header=BB14_3 Depth=1
	s_andn2_saveexec_b64 s[0:1], s[14:15]
	s_cbranch_execz .LBB14_7
; %bb.6:                                ;   in Loop: Header=BB14_3 Depth=1
	v_cvt_f32_u32_e32 v7, s12
	s_sub_i32 s14, 0, s12
	v_rcp_iflag_f32_e32 v7, v7
	v_mul_f32_e32 v7, 0x4f7ffffe, v7
	v_cvt_u32_f32_e32 v7, v7
	v_mul_lo_u32 v10, s14, v7
	v_mul_hi_u32 v10, v7, v10
	v_add_u32_e32 v7, v7, v10
	v_mul_hi_u32 v7, v8, v7
	v_mul_lo_u32 v10, v7, s12
	v_add_u32_e32 v11, 1, v7
	v_sub_u32_e32 v10, v8, v10
	v_subrev_u32_e32 v13, s12, v10
	v_cmp_le_u32_e32 vcc, s12, v10
	v_cndmask_b32_e32 v10, v10, v13, vcc
	v_cndmask_b32_e32 v7, v7, v11, vcc
	v_add_u32_e32 v11, 1, v7
	v_cmp_le_u32_e32 vcc, s12, v10
	v_cndmask_b32_e32 v10, v7, v11, vcc
	v_mov_b32_e32 v11, v6
.LBB14_7:                               ;   in Loop: Header=BB14_3 Depth=1
	s_or_b64 exec, exec, s[0:1]
	v_mul_lo_u32 v7, v11, s12
	v_mul_lo_u32 v15, v10, s13
	v_mad_u64_u32 v[13:14], s[0:1], v10, s12, 0
	s_load_dwordx2 s[0:1], s[6:7], 0xc8
	s_add_i32 s21, s21, -1
	v_add3_u32 v7, v14, v15, v7
	v_sub_co_u32_e32 v8, vcc, v8, v13
	v_subb_co_u32_e32 v7, vcc, v9, v7, vcc
	s_waitcnt lgkmcnt(0)
	v_mul_lo_u32 v7, s0, v7
	v_mul_lo_u32 v9, s1, v8
	v_mad_u64_u32 v[4:5], s[0:1], s0, v8, v[4:5]
	s_add_u32 s6, s6, -8
	s_addc_u32 s7, s7, -1
	s_cmp_gt_u32 s21, 2
	v_add3_u32 v5, v9, v5, v7
	s_cbranch_scc0 .LBB14_10
; %bb.8:                                ;   in Loop: Header=BB14_3 Depth=1
	v_mov_b32_e32 v8, v10
	v_mov_b32_e32 v9, v11
	s_branch .LBB14_3
.LBB14_9:
	v_mov_b32_e32 v11, v1
	v_mov_b32_e32 v10, v0
.LBB14_10:
	s_load_dwordx2 s[6:7], s[4:5], 0x1a8
	s_load_dword s1, s[2:3], 0xd0
	s_load_dwordx2 s[12:13], s[2:3], 0x0
	v_mul_lo_u32 v3, v3, s11
	v_mul_lo_u32 v9, v2, s8
	s_ashr_i32 s0, s20, 31
	s_waitcnt lgkmcnt(0)
	v_mad_u64_u32 v[4:5], s[2:3], s1, v10, v[4:5]
	v_mov_b32_e32 v5, 0
	v_mov_b32_e32 v7, s13
	;; [unrolled: 1-line block ×3, first 2 shown]
	v_ashrrev_i64 v[4:5], 29, v[5:6]
	s_load_dwordx2 s[2:3], s[4:5], 0x0
	v_add_co_u32_e32 v4, vcc, s12, v4
	v_addc_co_u32_e32 v5, vcc, v7, v5, vcc
	global_load_dwordx2 v[4:5], v[4:5], off
	v_lshlrev_b64 v[6:7], 2, v[0:1]
	v_sub_u32_e32 v0, v12, v3
	v_sub_u32_e32 v3, v12, v9
	v_add_u32_e32 v10, 1, v2
	v_cmp_le_u32_e32 vcc, s8, v3
	v_cndmask_b32_e32 v2, v2, v10, vcc
	v_subrev_u32_e32 v10, s8, v3
	s_waitcnt lgkmcnt(0)
	v_mov_b32_e32 v12, s3
	v_cndmask_b32_e32 v3, v3, v10, vcc
	v_add_co_u32_e32 v6, vcc, s2, v6
	v_xor_b32_e32 v8, s0, v1
	v_subrev_u32_e32 v9, s11, v0
	v_cmp_le_u32_e64 s[0:1], s11, v0
	v_addc_co_u32_e32 v7, vcc, v12, v7, vcc
	v_cndmask_b32_e64 v0, v0, v9, s[0:1]
	v_add_u32_e32 v9, 1, v2
	v_cmp_le_u32_e32 vcc, s8, v3
	v_subrev_u32_e32 v10, s11, v0
	v_cndmask_b32_e32 v2, v2, v9, vcc
	v_cmp_le_u32_e32 vcc, s11, v0
	v_cndmask_b32_e32 v0, v0, v10, vcc
	v_xor_b32_e32 v2, v2, v8
	s_mul_i32 s4, s10, s9
	v_xor_b32_e32 v3, v0, v1
	v_sub_u32_e32 v0, v2, v8
	v_mul_lo_u32 v0, s4, v0
	s_ashr_i32 s5, s9, 31
	v_sub_u32_e32 v1, v3, v1
	v_ashrrev_i32_e32 v2, 31, v1
	v_lshlrev_b64 v[2:3], 2, v[1:2]
	v_ashrrev_i32_e32 v1, 31, v0
	v_lshlrev_b64 v[0:1], 2, v[0:1]
	v_mov_b32_e32 v11, s7
	v_add_co_u32_e32 v10, vcc, s6, v0
	v_addc_co_u32_e32 v11, vcc, v11, v1, vcc
	s_waitcnt vmcnt(0)
	v_mul_lo_u32 v8, v4, s5
	v_mul_lo_u32 v9, v5, s9
	v_mad_u64_u32 v[4:5], s[0:1], v4, s9, 0
	s_mov_b64 s[0:1], 0
	v_add3_u32 v5, v5, v8, v9
	v_lshlrev_b64 v[0:1], 2, v[4:5]
	v_add_co_u32_e32 v0, vcc, v10, v0
	v_addc_co_u32_e32 v1, vcc, v11, v1, vcc
	v_add_co_u32_e32 v0, vcc, v0, v2
	v_addc_co_u32_e32 v1, vcc, v1, v3, vcc
	global_load_dword v4, v[6:7], off
	global_load_dword v3, v[0:1], off glc
.LBB14_11:                              ; =>This Inner Loop Header: Depth=1
	s_waitcnt vmcnt(1)
	v_max_f32_e32 v2, v4, v4
	s_waitcnt vmcnt(0)
	v_max_f32_e32 v5, v3, v3
	v_max_f32_e32 v2, v5, v2
	global_atomic_cmpswap v2, v[0:1], v[2:3], off glc
	s_waitcnt vmcnt(0)
	v_cmp_eq_u32_e32 vcc, v3, v2
	s_or_b64 s[0:1], vcc, s[0:1]
	v_mov_b32_e32 v3, v2
	s_andn2_b64 exec, exec, s[0:1]
	s_cbranch_execnz .LBB14_11
.LBB14_12:
	s_endpgm
	.section	.rodata,"a",@progbits
	.p2align	6, 0x0
	.amdhsa_kernel _Z14scatter_kernelIfL13ReductionType4EEvPKT_10TensorInfoIllEPS1_iiii
		.amdhsa_group_segment_fixed_size 0
		.amdhsa_private_segment_fixed_size 0
		.amdhsa_kernarg_size 704
		.amdhsa_user_sgpr_count 6
		.amdhsa_user_sgpr_private_segment_buffer 1
		.amdhsa_user_sgpr_dispatch_ptr 0
		.amdhsa_user_sgpr_queue_ptr 0
		.amdhsa_user_sgpr_kernarg_segment_ptr 1
		.amdhsa_user_sgpr_dispatch_id 0
		.amdhsa_user_sgpr_flat_scratch_init 0
		.amdhsa_user_sgpr_private_segment_size 0
		.amdhsa_uses_dynamic_stack 0
		.amdhsa_system_sgpr_private_segment_wavefront_offset 0
		.amdhsa_system_sgpr_workgroup_id_x 1
		.amdhsa_system_sgpr_workgroup_id_y 0
		.amdhsa_system_sgpr_workgroup_id_z 0
		.amdhsa_system_sgpr_workgroup_info 0
		.amdhsa_system_vgpr_workitem_id 0
		.amdhsa_next_free_vgpr 21
		.amdhsa_next_free_sgpr 29
		.amdhsa_reserve_vcc 1
		.amdhsa_reserve_flat_scratch 0
		.amdhsa_float_round_mode_32 0
		.amdhsa_float_round_mode_16_64 0
		.amdhsa_float_denorm_mode_32 3
		.amdhsa_float_denorm_mode_16_64 3
		.amdhsa_dx10_clamp 1
		.amdhsa_ieee_mode 1
		.amdhsa_fp16_overflow 0
		.amdhsa_exception_fp_ieee_invalid_op 0
		.amdhsa_exception_fp_denorm_src 0
		.amdhsa_exception_fp_ieee_div_zero 0
		.amdhsa_exception_fp_ieee_overflow 0
		.amdhsa_exception_fp_ieee_underflow 0
		.amdhsa_exception_fp_ieee_inexact 0
		.amdhsa_exception_int_div_zero 0
	.end_amdhsa_kernel
	.section	.text._Z14scatter_kernelIfL13ReductionType4EEvPKT_10TensorInfoIllEPS1_iiii,"axG",@progbits,_Z14scatter_kernelIfL13ReductionType4EEvPKT_10TensorInfoIllEPS1_iiii,comdat
.Lfunc_end14:
	.size	_Z14scatter_kernelIfL13ReductionType4EEvPKT_10TensorInfoIllEPS1_iiii, .Lfunc_end14-_Z14scatter_kernelIfL13ReductionType4EEvPKT_10TensorInfoIllEPS1_iiii
                                        ; -- End function
	.set _Z14scatter_kernelIfL13ReductionType4EEvPKT_10TensorInfoIllEPS1_iiii.num_vgpr, 21
	.set _Z14scatter_kernelIfL13ReductionType4EEvPKT_10TensorInfoIllEPS1_iiii.num_agpr, 0
	.set _Z14scatter_kernelIfL13ReductionType4EEvPKT_10TensorInfoIllEPS1_iiii.numbered_sgpr, 29
	.set _Z14scatter_kernelIfL13ReductionType4EEvPKT_10TensorInfoIllEPS1_iiii.num_named_barrier, 0
	.set _Z14scatter_kernelIfL13ReductionType4EEvPKT_10TensorInfoIllEPS1_iiii.private_seg_size, 0
	.set _Z14scatter_kernelIfL13ReductionType4EEvPKT_10TensorInfoIllEPS1_iiii.uses_vcc, 1
	.set _Z14scatter_kernelIfL13ReductionType4EEvPKT_10TensorInfoIllEPS1_iiii.uses_flat_scratch, 0
	.set _Z14scatter_kernelIfL13ReductionType4EEvPKT_10TensorInfoIllEPS1_iiii.has_dyn_sized_stack, 0
	.set _Z14scatter_kernelIfL13ReductionType4EEvPKT_10TensorInfoIllEPS1_iiii.has_recursion, 0
	.set _Z14scatter_kernelIfL13ReductionType4EEvPKT_10TensorInfoIllEPS1_iiii.has_indirect_call, 0
	.section	.AMDGPU.csdata,"",@progbits
; Kernel info:
; codeLenInByte = 1540
; TotalNumSgprs: 33
; NumVgprs: 21
; ScratchSize: 0
; MemoryBound: 0
; FloatMode: 240
; IeeeMode: 1
; LDSByteSize: 0 bytes/workgroup (compile time only)
; SGPRBlocks: 4
; VGPRBlocks: 5
; NumSGPRsForWavesPerEU: 33
; NumVGPRsForWavesPerEU: 21
; Occupancy: 10
; WaveLimiterHint : 1
; COMPUTE_PGM_RSRC2:SCRATCH_EN: 0
; COMPUTE_PGM_RSRC2:USER_SGPR: 6
; COMPUTE_PGM_RSRC2:TRAP_HANDLER: 0
; COMPUTE_PGM_RSRC2:TGID_X_EN: 1
; COMPUTE_PGM_RSRC2:TGID_Y_EN: 0
; COMPUTE_PGM_RSRC2:TGID_Z_EN: 0
; COMPUTE_PGM_RSRC2:TIDIG_COMP_CNT: 0
	.section	.text._Z14scatter_kernelIdL13ReductionType1EEvPKT_10TensorInfoIllEPS1_iiii,"axG",@progbits,_Z14scatter_kernelIdL13ReductionType1EEvPKT_10TensorInfoIllEPS1_iiii,comdat
	.protected	_Z14scatter_kernelIdL13ReductionType1EEvPKT_10TensorInfoIllEPS1_iiii ; -- Begin function _Z14scatter_kernelIdL13ReductionType1EEvPKT_10TensorInfoIllEPS1_iiii
	.globl	_Z14scatter_kernelIdL13ReductionType1EEvPKT_10TensorInfoIllEPS1_iiii
	.p2align	8
	.type	_Z14scatter_kernelIdL13ReductionType1EEvPKT_10TensorInfoIllEPS1_iiii,@function
_Z14scatter_kernelIdL13ReductionType1EEvPKT_10TensorInfoIllEPS1_iiii: ; @_Z14scatter_kernelIdL13ReductionType1EEvPKT_10TensorInfoIllEPS1_iiii
; %bb.0:
	s_load_dword s0, s[4:5], 0x1cc
	s_load_dwordx4 s[8:11], s[4:5], 0x1b0
	s_waitcnt lgkmcnt(0)
	s_and_b32 s0, s0, 0xffff
	s_mul_i32 s6, s6, s0
	v_add_u32_e32 v0, s6, v0
	v_cmp_gt_i32_e32 vcc, s11, v0
	s_and_saveexec_b64 s[0:1], vcc
	s_cbranch_execz .LBB15_12
; %bb.1:
	s_add_u32 s2, s4, 8
	s_addc_u32 s3, s5, 0
	s_abs_i32 s11, s9
	s_mul_i32 s20, s9, s8
	v_cvt_f32_u32_e32 v1, s11
	s_abs_i32 s8, s20
	v_cvt_f32_u32_e32 v2, s8
	s_sub_i32 s0, 0, s11
	v_rcp_iflag_f32_e32 v1, v1
	v_sub_u32_e32 v5, 0, v0
	v_rcp_iflag_f32_e32 v2, v2
	v_max_i32_e32 v12, v0, v5
	v_mul_f32_e32 v1, 0x4f7ffffe, v1
	v_cvt_u32_f32_e32 v1, v1
	v_mul_f32_e32 v2, 0x4f7ffffe, v2
	v_cvt_u32_f32_e32 v4, v2
	s_mov_b32 s1, 0
	v_mul_lo_u32 v2, s0, v1
	s_sub_i32 s0, 0, s8
	v_mul_lo_u32 v3, s0, v4
	s_load_dword s0, s[4:5], 0x1a0
	v_mul_hi_u32 v2, v1, v2
	v_mul_hi_u32 v5, v4, v3
	v_add_u32_e32 v1, v1, v2
	v_mad_u64_u32 v[2:3], s[6:7], v12, v1, 0
	v_add_u32_e32 v1, v4, v5
	v_mad_u64_u32 v[1:2], s[6:7], v12, v1, 0
	v_mov_b32_e32 v4, 0
	s_waitcnt lgkmcnt(0)
	s_cmp_lt_i32 s0, 2
	v_ashrrev_i32_e32 v1, 31, v0
	v_mov_b32_e32 v5, 0
	s_cbranch_scc1 .LBB15_9
; %bb.2:
	s_add_i32 s21, s0, 1
	s_add_i32 s0, s0, -1
	s_lshl_b64 s[0:1], s[0:1], 3
	s_add_u32 s0, s2, s0
	s_addc_u32 s1, s3, s1
	s_add_u32 s6, s0, 8
	v_mov_b32_e32 v4, 0
	v_mov_b32_e32 v9, v1
	s_addc_u32 s7, s1, 0
	v_mov_b32_e32 v5, 0
	v_mov_b32_e32 v6, 0
	;; [unrolled: 1-line block ×3, first 2 shown]
.LBB15_3:                               ; =>This Inner Loop Header: Depth=1
	s_load_dwordx2 s[12:13], s[6:7], 0x0
                                        ; implicit-def: $vgpr10_vgpr11
	s_waitcnt lgkmcnt(0)
	v_or_b32_e32 v7, s13, v9
	v_cmp_ne_u64_e32 vcc, 0, v[6:7]
	s_and_saveexec_b64 s[0:1], vcc
	s_xor_b64 s[14:15], exec, s[0:1]
	s_cbranch_execz .LBB15_5
; %bb.4:                                ;   in Loop: Header=BB15_3 Depth=1
	s_ashr_i32 s16, s13, 31
	s_add_u32 s0, s12, s16
	s_mov_b32 s17, s16
	s_addc_u32 s1, s13, s16
	s_xor_b64 s[18:19], s[0:1], s[16:17]
	v_cvt_f32_u32_e32 v7, s18
	v_cvt_f32_u32_e32 v10, s19
	s_sub_u32 s17, 0, s18
	s_subb_u32 s22, 0, s19
	v_mac_f32_e32 v7, 0x4f800000, v10
	v_rcp_f32_e32 v7, v7
	v_mul_f32_e32 v7, 0x5f7ffffc, v7
	v_mul_f32_e32 v10, 0x2f800000, v7
	v_trunc_f32_e32 v10, v10
	v_mac_f32_e32 v7, 0xcf800000, v10
	v_cvt_u32_f32_e32 v10, v10
	v_cvt_u32_f32_e32 v7, v7
	v_readfirstlane_b32 s23, v10
	v_readfirstlane_b32 s0, v7
	s_mul_i32 s1, s17, s23
	s_mul_hi_u32 s25, s17, s0
	s_mul_i32 s24, s22, s0
	s_add_i32 s1, s25, s1
	s_add_i32 s1, s1, s24
	s_mul_i32 s26, s17, s0
	s_mul_i32 s25, s0, s1
	s_mul_hi_u32 s27, s0, s26
	s_mul_hi_u32 s24, s0, s1
	s_add_u32 s25, s27, s25
	s_addc_u32 s24, 0, s24
	s_mul_hi_u32 s28, s23, s26
	s_mul_i32 s26, s23, s26
	s_add_u32 s25, s25, s26
	s_mul_hi_u32 s27, s23, s1
	s_addc_u32 s24, s24, s28
	s_addc_u32 s25, s27, 0
	s_mul_i32 s1, s23, s1
	s_add_u32 s1, s24, s1
	s_addc_u32 s24, 0, s25
	s_add_u32 s25, s0, s1
	s_cselect_b64 s[0:1], -1, 0
	s_cmp_lg_u64 s[0:1], 0
	s_addc_u32 s23, s23, s24
	s_mul_i32 s0, s17, s23
	s_mul_hi_u32 s1, s17, s25
	s_add_i32 s0, s1, s0
	s_mul_i32 s22, s22, s25
	s_add_i32 s0, s0, s22
	s_mul_i32 s17, s17, s25
	s_mul_hi_u32 s22, s23, s17
	s_mul_i32 s24, s23, s17
	s_mul_i32 s27, s25, s0
	s_mul_hi_u32 s17, s25, s17
	s_mul_hi_u32 s26, s25, s0
	s_add_u32 s17, s17, s27
	s_addc_u32 s26, 0, s26
	s_add_u32 s17, s17, s24
	s_mul_hi_u32 s1, s23, s0
	s_addc_u32 s17, s26, s22
	s_addc_u32 s1, s1, 0
	s_mul_i32 s0, s23, s0
	s_add_u32 s0, s17, s0
	s_addc_u32 s17, 0, s1
	s_add_u32 s22, s25, s0
	s_cselect_b64 s[0:1], -1, 0
	v_ashrrev_i32_e32 v7, 31, v9
	s_cmp_lg_u64 s[0:1], 0
	v_add_co_u32_e32 v10, vcc, v8, v7
	s_addc_u32 s17, s23, s17
	v_xor_b32_e32 v15, v10, v7
	v_mad_u64_u32 v[10:11], s[0:1], v15, s17, 0
	v_mul_hi_u32 v14, v15, s22
	v_addc_co_u32_e32 v13, vcc, v9, v7, vcc
	v_xor_b32_e32 v16, v13, v7
	v_add_co_u32_e32 v17, vcc, v14, v10
	v_addc_co_u32_e32 v18, vcc, 0, v11, vcc
	v_mad_u64_u32 v[10:11], s[0:1], v16, s22, 0
	v_mad_u64_u32 v[13:14], s[0:1], v16, s17, 0
	v_add_co_u32_e32 v10, vcc, v17, v10
	v_addc_co_u32_e32 v10, vcc, v18, v11, vcc
	v_addc_co_u32_e32 v11, vcc, 0, v14, vcc
	v_add_co_u32_e32 v13, vcc, v10, v13
	v_addc_co_u32_e32 v14, vcc, 0, v11, vcc
	v_mul_lo_u32 v17, s19, v13
	v_mul_lo_u32 v18, s18, v14
	v_mad_u64_u32 v[10:11], s[0:1], s18, v13, 0
	v_xor_b32_e32 v7, s16, v7
	v_add3_u32 v11, v11, v18, v17
	v_sub_u32_e32 v17, v16, v11
	v_mov_b32_e32 v18, s19
	v_sub_co_u32_e32 v10, vcc, v15, v10
	v_subb_co_u32_e64 v15, s[0:1], v17, v18, vcc
	v_subrev_co_u32_e64 v17, s[0:1], s18, v10
	v_subbrev_co_u32_e64 v15, s[0:1], 0, v15, s[0:1]
	v_cmp_le_u32_e64 s[0:1], s19, v15
	v_cndmask_b32_e64 v18, 0, -1, s[0:1]
	v_cmp_le_u32_e64 s[0:1], s18, v17
	v_cndmask_b32_e64 v17, 0, -1, s[0:1]
	v_cmp_eq_u32_e64 s[0:1], s19, v15
	v_cndmask_b32_e64 v15, v18, v17, s[0:1]
	v_add_co_u32_e64 v17, s[0:1], 2, v13
	v_subb_co_u32_e32 v11, vcc, v16, v11, vcc
	v_addc_co_u32_e64 v18, s[0:1], 0, v14, s[0:1]
	v_cmp_le_u32_e32 vcc, s19, v11
	v_add_co_u32_e64 v19, s[0:1], 1, v13
	v_cndmask_b32_e64 v16, 0, -1, vcc
	v_cmp_le_u32_e32 vcc, s18, v10
	v_addc_co_u32_e64 v20, s[0:1], 0, v14, s[0:1]
	v_cndmask_b32_e64 v10, 0, -1, vcc
	v_cmp_eq_u32_e32 vcc, s19, v11
	v_cmp_ne_u32_e64 s[0:1], 0, v15
	v_cndmask_b32_e32 v10, v16, v10, vcc
	v_cndmask_b32_e64 v15, v20, v18, s[0:1]
	v_cmp_ne_u32_e32 vcc, 0, v10
	v_cndmask_b32_e64 v11, v19, v17, s[0:1]
	v_cndmask_b32_e32 v10, v14, v15, vcc
	v_cndmask_b32_e32 v11, v13, v11, vcc
	v_xor_b32_e32 v13, v10, v7
	v_xor_b32_e32 v10, v11, v7
	v_sub_co_u32_e32 v10, vcc, v10, v7
	v_subb_co_u32_e32 v11, vcc, v13, v7, vcc
.LBB15_5:                               ;   in Loop: Header=BB15_3 Depth=1
	s_andn2_saveexec_b64 s[0:1], s[14:15]
	s_cbranch_execz .LBB15_7
; %bb.6:                                ;   in Loop: Header=BB15_3 Depth=1
	v_cvt_f32_u32_e32 v7, s12
	s_sub_i32 s14, 0, s12
	v_rcp_iflag_f32_e32 v7, v7
	v_mul_f32_e32 v7, 0x4f7ffffe, v7
	v_cvt_u32_f32_e32 v7, v7
	v_mul_lo_u32 v10, s14, v7
	v_mul_hi_u32 v10, v7, v10
	v_add_u32_e32 v7, v7, v10
	v_mul_hi_u32 v7, v8, v7
	v_mul_lo_u32 v10, v7, s12
	v_add_u32_e32 v11, 1, v7
	v_sub_u32_e32 v10, v8, v10
	v_subrev_u32_e32 v13, s12, v10
	v_cmp_le_u32_e32 vcc, s12, v10
	v_cndmask_b32_e32 v10, v10, v13, vcc
	v_cndmask_b32_e32 v7, v7, v11, vcc
	v_add_u32_e32 v11, 1, v7
	v_cmp_le_u32_e32 vcc, s12, v10
	v_cndmask_b32_e32 v10, v7, v11, vcc
	v_mov_b32_e32 v11, v6
.LBB15_7:                               ;   in Loop: Header=BB15_3 Depth=1
	s_or_b64 exec, exec, s[0:1]
	v_mul_lo_u32 v7, v11, s12
	v_mul_lo_u32 v15, v10, s13
	v_mad_u64_u32 v[13:14], s[0:1], v10, s12, 0
	s_load_dwordx2 s[0:1], s[6:7], 0xc8
	s_add_i32 s21, s21, -1
	v_add3_u32 v7, v14, v15, v7
	v_sub_co_u32_e32 v8, vcc, v8, v13
	v_subb_co_u32_e32 v7, vcc, v9, v7, vcc
	s_waitcnt lgkmcnt(0)
	v_mul_lo_u32 v7, s0, v7
	v_mul_lo_u32 v9, s1, v8
	v_mad_u64_u32 v[4:5], s[0:1], s0, v8, v[4:5]
	s_add_u32 s6, s6, -8
	s_addc_u32 s7, s7, -1
	s_cmp_gt_u32 s21, 2
	v_add3_u32 v5, v9, v5, v7
	s_cbranch_scc0 .LBB15_10
; %bb.8:                                ;   in Loop: Header=BB15_3 Depth=1
	v_mov_b32_e32 v8, v10
	v_mov_b32_e32 v9, v11
	s_branch .LBB15_3
.LBB15_9:
	v_mov_b32_e32 v11, v1
	v_mov_b32_e32 v10, v0
.LBB15_10:
	s_load_dwordx2 s[6:7], s[4:5], 0x1a8
	s_load_dword s1, s[2:3], 0xd0
	s_load_dwordx2 s[12:13], s[2:3], 0x0
	v_mul_lo_u32 v3, v3, s11
	v_mul_lo_u32 v8, v2, s8
	s_ashr_i32 s0, s20, 31
	s_waitcnt lgkmcnt(0)
	v_mad_u64_u32 v[4:5], s[2:3], s1, v10, v[4:5]
	v_mov_b32_e32 v5, 0
	v_mov_b32_e32 v7, s13
	;; [unrolled: 1-line block ×3, first 2 shown]
	v_ashrrev_i64 v[4:5], 29, v[5:6]
	s_load_dwordx2 s[2:3], s[4:5], 0x0
	v_add_co_u32_e32 v4, vcc, s12, v4
	v_addc_co_u32_e32 v5, vcc, v7, v5, vcc
	global_load_dwordx2 v[4:5], v[4:5], off
	v_lshlrev_b64 v[6:7], 3, v[0:1]
	v_sub_u32_e32 v0, v12, v3
	v_sub_u32_e32 v3, v12, v8
	v_add_u32_e32 v9, 1, v2
	v_cmp_le_u32_e32 vcc, s8, v3
	v_xor_b32_e32 v10, s0, v1
	v_subrev_u32_e32 v8, s11, v0
	v_cndmask_b32_e32 v2, v2, v9, vcc
	v_subrev_u32_e32 v9, s8, v3
	v_cmp_le_u32_e64 s[0:1], s11, v0
	s_waitcnt lgkmcnt(0)
	v_mov_b32_e32 v12, s3
	v_cndmask_b32_e64 v0, v0, v8, s[0:1]
	v_cndmask_b32_e32 v3, v3, v9, vcc
	v_add_co_u32_e32 v8, vcc, s2, v6
	v_addc_co_u32_e32 v9, vcc, v12, v7, vcc
	v_add_u32_e32 v13, 1, v2
	v_cmp_le_u32_e32 vcc, s8, v3
	v_subrev_u32_e32 v6, s11, v0
	v_cndmask_b32_e32 v2, v2, v13, vcc
	v_cmp_le_u32_e32 vcc, s11, v0
	v_cndmask_b32_e32 v0, v0, v6, vcc
	v_xor_b32_e32 v2, v2, v10
	s_mul_i32 s4, s10, s9
	v_xor_b32_e32 v3, v0, v1
	v_sub_u32_e32 v0, v2, v10
	v_mul_lo_u32 v0, s4, v0
	s_ashr_i32 s5, s9, 31
	v_sub_u32_e32 v1, v3, v1
	v_ashrrev_i32_e32 v2, 31, v1
	v_lshlrev_b64 v[2:3], 3, v[1:2]
	v_ashrrev_i32_e32 v1, 31, v0
	v_lshlrev_b64 v[0:1], 3, v[0:1]
	v_mov_b32_e32 v11, s7
	v_add_co_u32_e32 v10, vcc, s6, v0
	v_addc_co_u32_e32 v11, vcc, v11, v1, vcc
	s_waitcnt vmcnt(0)
	v_mul_lo_u32 v6, v4, s5
	v_mul_lo_u32 v7, v5, s9
	v_mad_u64_u32 v[4:5], s[0:1], v4, s9, 0
	s_mov_b64 s[0:1], 0
	v_add3_u32 v5, v5, v6, v7
	v_lshlrev_b64 v[0:1], 3, v[4:5]
	v_add_co_u32_e32 v0, vcc, v10, v0
	v_addc_co_u32_e32 v1, vcc, v11, v1, vcc
	v_add_co_u32_e32 v4, vcc, v0, v2
	v_addc_co_u32_e32 v5, vcc, v1, v3, vcc
	global_load_dwordx2 v[6:7], v[8:9], off
	global_load_dwordx2 v[2:3], v[4:5], off glc
.LBB15_11:                              ; =>This Inner Loop Header: Depth=1
	s_waitcnt vmcnt(0)
	v_mul_f64 v[0:1], v[6:7], v[2:3]
	global_atomic_cmpswap_x2 v[0:1], v[4:5], v[0:3], off glc
	s_waitcnt vmcnt(0)
	v_cmp_eq_u64_e32 vcc, v[2:3], v[0:1]
	v_mov_b32_e32 v3, v1
	s_or_b64 s[0:1], vcc, s[0:1]
	v_mov_b32_e32 v2, v0
	s_andn2_b64 exec, exec, s[0:1]
	s_cbranch_execnz .LBB15_11
.LBB15_12:
	s_endpgm
	.section	.rodata,"a",@progbits
	.p2align	6, 0x0
	.amdhsa_kernel _Z14scatter_kernelIdL13ReductionType1EEvPKT_10TensorInfoIllEPS1_iiii
		.amdhsa_group_segment_fixed_size 0
		.amdhsa_private_segment_fixed_size 0
		.amdhsa_kernarg_size 704
		.amdhsa_user_sgpr_count 6
		.amdhsa_user_sgpr_private_segment_buffer 1
		.amdhsa_user_sgpr_dispatch_ptr 0
		.amdhsa_user_sgpr_queue_ptr 0
		.amdhsa_user_sgpr_kernarg_segment_ptr 1
		.amdhsa_user_sgpr_dispatch_id 0
		.amdhsa_user_sgpr_flat_scratch_init 0
		.amdhsa_user_sgpr_private_segment_size 0
		.amdhsa_uses_dynamic_stack 0
		.amdhsa_system_sgpr_private_segment_wavefront_offset 0
		.amdhsa_system_sgpr_workgroup_id_x 1
		.amdhsa_system_sgpr_workgroup_id_y 0
		.amdhsa_system_sgpr_workgroup_id_z 0
		.amdhsa_system_sgpr_workgroup_info 0
		.amdhsa_system_vgpr_workitem_id 0
		.amdhsa_next_free_vgpr 21
		.amdhsa_next_free_sgpr 29
		.amdhsa_reserve_vcc 1
		.amdhsa_reserve_flat_scratch 0
		.amdhsa_float_round_mode_32 0
		.amdhsa_float_round_mode_16_64 0
		.amdhsa_float_denorm_mode_32 3
		.amdhsa_float_denorm_mode_16_64 3
		.amdhsa_dx10_clamp 1
		.amdhsa_ieee_mode 1
		.amdhsa_fp16_overflow 0
		.amdhsa_exception_fp_ieee_invalid_op 0
		.amdhsa_exception_fp_denorm_src 0
		.amdhsa_exception_fp_ieee_div_zero 0
		.amdhsa_exception_fp_ieee_overflow 0
		.amdhsa_exception_fp_ieee_underflow 0
		.amdhsa_exception_fp_ieee_inexact 0
		.amdhsa_exception_int_div_zero 0
	.end_amdhsa_kernel
	.section	.text._Z14scatter_kernelIdL13ReductionType1EEvPKT_10TensorInfoIllEPS1_iiii,"axG",@progbits,_Z14scatter_kernelIdL13ReductionType1EEvPKT_10TensorInfoIllEPS1_iiii,comdat
.Lfunc_end15:
	.size	_Z14scatter_kernelIdL13ReductionType1EEvPKT_10TensorInfoIllEPS1_iiii, .Lfunc_end15-_Z14scatter_kernelIdL13ReductionType1EEvPKT_10TensorInfoIllEPS1_iiii
                                        ; -- End function
	.set _Z14scatter_kernelIdL13ReductionType1EEvPKT_10TensorInfoIllEPS1_iiii.num_vgpr, 21
	.set _Z14scatter_kernelIdL13ReductionType1EEvPKT_10TensorInfoIllEPS1_iiii.num_agpr, 0
	.set _Z14scatter_kernelIdL13ReductionType1EEvPKT_10TensorInfoIllEPS1_iiii.numbered_sgpr, 29
	.set _Z14scatter_kernelIdL13ReductionType1EEvPKT_10TensorInfoIllEPS1_iiii.num_named_barrier, 0
	.set _Z14scatter_kernelIdL13ReductionType1EEvPKT_10TensorInfoIllEPS1_iiii.private_seg_size, 0
	.set _Z14scatter_kernelIdL13ReductionType1EEvPKT_10TensorInfoIllEPS1_iiii.uses_vcc, 1
	.set _Z14scatter_kernelIdL13ReductionType1EEvPKT_10TensorInfoIllEPS1_iiii.uses_flat_scratch, 0
	.set _Z14scatter_kernelIdL13ReductionType1EEvPKT_10TensorInfoIllEPS1_iiii.has_dyn_sized_stack, 0
	.set _Z14scatter_kernelIdL13ReductionType1EEvPKT_10TensorInfoIllEPS1_iiii.has_recursion, 0
	.set _Z14scatter_kernelIdL13ReductionType1EEvPKT_10TensorInfoIllEPS1_iiii.has_indirect_call, 0
	.section	.AMDGPU.csdata,"",@progbits
; Kernel info:
; codeLenInByte = 1536
; TotalNumSgprs: 33
; NumVgprs: 21
; ScratchSize: 0
; MemoryBound: 0
; FloatMode: 240
; IeeeMode: 1
; LDSByteSize: 0 bytes/workgroup (compile time only)
; SGPRBlocks: 4
; VGPRBlocks: 5
; NumSGPRsForWavesPerEU: 33
; NumVGPRsForWavesPerEU: 21
; Occupancy: 10
; WaveLimiterHint : 1
; COMPUTE_PGM_RSRC2:SCRATCH_EN: 0
; COMPUTE_PGM_RSRC2:USER_SGPR: 6
; COMPUTE_PGM_RSRC2:TRAP_HANDLER: 0
; COMPUTE_PGM_RSRC2:TGID_X_EN: 1
; COMPUTE_PGM_RSRC2:TGID_Y_EN: 0
; COMPUTE_PGM_RSRC2:TGID_Z_EN: 0
; COMPUTE_PGM_RSRC2:TIDIG_COMP_CNT: 0
	.section	.text._Z14scatter_kernelIdL13ReductionType2EEvPKT_10TensorInfoIllEPS1_iiii,"axG",@progbits,_Z14scatter_kernelIdL13ReductionType2EEvPKT_10TensorInfoIllEPS1_iiii,comdat
	.protected	_Z14scatter_kernelIdL13ReductionType2EEvPKT_10TensorInfoIllEPS1_iiii ; -- Begin function _Z14scatter_kernelIdL13ReductionType2EEvPKT_10TensorInfoIllEPS1_iiii
	.globl	_Z14scatter_kernelIdL13ReductionType2EEvPKT_10TensorInfoIllEPS1_iiii
	.p2align	8
	.type	_Z14scatter_kernelIdL13ReductionType2EEvPKT_10TensorInfoIllEPS1_iiii,@function
_Z14scatter_kernelIdL13ReductionType2EEvPKT_10TensorInfoIllEPS1_iiii: ; @_Z14scatter_kernelIdL13ReductionType2EEvPKT_10TensorInfoIllEPS1_iiii
; %bb.0:
	s_load_dword s0, s[4:5], 0x1cc
	s_load_dwordx4 s[8:11], s[4:5], 0x1b0
	s_waitcnt lgkmcnt(0)
	s_and_b32 s0, s0, 0xffff
	s_mul_i32 s6, s6, s0
	v_add_u32_e32 v0, s6, v0
	v_cmp_gt_i32_e32 vcc, s11, v0
	s_and_saveexec_b64 s[0:1], vcc
	s_cbranch_execz .LBB16_12
; %bb.1:
	s_add_u32 s2, s4, 8
	s_addc_u32 s3, s5, 0
	s_abs_i32 s11, s9
	s_mul_i32 s20, s9, s8
	v_cvt_f32_u32_e32 v1, s11
	s_abs_i32 s8, s20
	v_cvt_f32_u32_e32 v2, s8
	s_sub_i32 s0, 0, s11
	v_rcp_iflag_f32_e32 v1, v1
	v_sub_u32_e32 v5, 0, v0
	v_rcp_iflag_f32_e32 v2, v2
	v_max_i32_e32 v12, v0, v5
	v_mul_f32_e32 v1, 0x4f7ffffe, v1
	v_cvt_u32_f32_e32 v1, v1
	v_mul_f32_e32 v2, 0x4f7ffffe, v2
	v_cvt_u32_f32_e32 v4, v2
	s_mov_b32 s1, 0
	v_mul_lo_u32 v2, s0, v1
	s_sub_i32 s0, 0, s8
	v_mul_lo_u32 v3, s0, v4
	s_load_dword s0, s[4:5], 0x1a0
	v_mul_hi_u32 v2, v1, v2
	v_mul_hi_u32 v5, v4, v3
	v_add_u32_e32 v1, v1, v2
	v_mad_u64_u32 v[2:3], s[6:7], v12, v1, 0
	v_add_u32_e32 v1, v4, v5
	v_mad_u64_u32 v[1:2], s[6:7], v12, v1, 0
	v_mov_b32_e32 v4, 0
	s_waitcnt lgkmcnt(0)
	s_cmp_lt_i32 s0, 2
	v_ashrrev_i32_e32 v1, 31, v0
	v_mov_b32_e32 v5, 0
	s_cbranch_scc1 .LBB16_9
; %bb.2:
	s_add_i32 s21, s0, 1
	s_add_i32 s0, s0, -1
	s_lshl_b64 s[0:1], s[0:1], 3
	s_add_u32 s0, s2, s0
	s_addc_u32 s1, s3, s1
	s_add_u32 s6, s0, 8
	v_mov_b32_e32 v4, 0
	v_mov_b32_e32 v9, v1
	s_addc_u32 s7, s1, 0
	v_mov_b32_e32 v5, 0
	v_mov_b32_e32 v6, 0
	;; [unrolled: 1-line block ×3, first 2 shown]
.LBB16_3:                               ; =>This Inner Loop Header: Depth=1
	s_load_dwordx2 s[12:13], s[6:7], 0x0
                                        ; implicit-def: $vgpr10_vgpr11
	s_waitcnt lgkmcnt(0)
	v_or_b32_e32 v7, s13, v9
	v_cmp_ne_u64_e32 vcc, 0, v[6:7]
	s_and_saveexec_b64 s[0:1], vcc
	s_xor_b64 s[14:15], exec, s[0:1]
	s_cbranch_execz .LBB16_5
; %bb.4:                                ;   in Loop: Header=BB16_3 Depth=1
	s_ashr_i32 s16, s13, 31
	s_add_u32 s0, s12, s16
	s_mov_b32 s17, s16
	s_addc_u32 s1, s13, s16
	s_xor_b64 s[18:19], s[0:1], s[16:17]
	v_cvt_f32_u32_e32 v7, s18
	v_cvt_f32_u32_e32 v10, s19
	s_sub_u32 s17, 0, s18
	s_subb_u32 s22, 0, s19
	v_mac_f32_e32 v7, 0x4f800000, v10
	v_rcp_f32_e32 v7, v7
	v_mul_f32_e32 v7, 0x5f7ffffc, v7
	v_mul_f32_e32 v10, 0x2f800000, v7
	v_trunc_f32_e32 v10, v10
	v_mac_f32_e32 v7, 0xcf800000, v10
	v_cvt_u32_f32_e32 v10, v10
	v_cvt_u32_f32_e32 v7, v7
	v_readfirstlane_b32 s23, v10
	v_readfirstlane_b32 s0, v7
	s_mul_i32 s1, s17, s23
	s_mul_hi_u32 s25, s17, s0
	s_mul_i32 s24, s22, s0
	s_add_i32 s1, s25, s1
	s_add_i32 s1, s1, s24
	s_mul_i32 s26, s17, s0
	s_mul_i32 s25, s0, s1
	s_mul_hi_u32 s27, s0, s26
	s_mul_hi_u32 s24, s0, s1
	s_add_u32 s25, s27, s25
	s_addc_u32 s24, 0, s24
	s_mul_hi_u32 s28, s23, s26
	s_mul_i32 s26, s23, s26
	s_add_u32 s25, s25, s26
	s_mul_hi_u32 s27, s23, s1
	s_addc_u32 s24, s24, s28
	s_addc_u32 s25, s27, 0
	s_mul_i32 s1, s23, s1
	s_add_u32 s1, s24, s1
	s_addc_u32 s24, 0, s25
	s_add_u32 s25, s0, s1
	s_cselect_b64 s[0:1], -1, 0
	s_cmp_lg_u64 s[0:1], 0
	s_addc_u32 s23, s23, s24
	s_mul_i32 s0, s17, s23
	s_mul_hi_u32 s1, s17, s25
	s_add_i32 s0, s1, s0
	s_mul_i32 s22, s22, s25
	s_add_i32 s0, s0, s22
	s_mul_i32 s17, s17, s25
	s_mul_hi_u32 s22, s23, s17
	s_mul_i32 s24, s23, s17
	s_mul_i32 s27, s25, s0
	s_mul_hi_u32 s17, s25, s17
	s_mul_hi_u32 s26, s25, s0
	s_add_u32 s17, s17, s27
	s_addc_u32 s26, 0, s26
	s_add_u32 s17, s17, s24
	s_mul_hi_u32 s1, s23, s0
	s_addc_u32 s17, s26, s22
	s_addc_u32 s1, s1, 0
	s_mul_i32 s0, s23, s0
	s_add_u32 s0, s17, s0
	s_addc_u32 s17, 0, s1
	s_add_u32 s22, s25, s0
	s_cselect_b64 s[0:1], -1, 0
	v_ashrrev_i32_e32 v7, 31, v9
	s_cmp_lg_u64 s[0:1], 0
	v_add_co_u32_e32 v10, vcc, v8, v7
	s_addc_u32 s17, s23, s17
	v_xor_b32_e32 v15, v10, v7
	v_mad_u64_u32 v[10:11], s[0:1], v15, s17, 0
	v_mul_hi_u32 v14, v15, s22
	v_addc_co_u32_e32 v13, vcc, v9, v7, vcc
	v_xor_b32_e32 v16, v13, v7
	v_add_co_u32_e32 v17, vcc, v14, v10
	v_addc_co_u32_e32 v18, vcc, 0, v11, vcc
	v_mad_u64_u32 v[10:11], s[0:1], v16, s22, 0
	v_mad_u64_u32 v[13:14], s[0:1], v16, s17, 0
	v_add_co_u32_e32 v10, vcc, v17, v10
	v_addc_co_u32_e32 v10, vcc, v18, v11, vcc
	v_addc_co_u32_e32 v11, vcc, 0, v14, vcc
	v_add_co_u32_e32 v13, vcc, v10, v13
	v_addc_co_u32_e32 v14, vcc, 0, v11, vcc
	v_mul_lo_u32 v17, s19, v13
	v_mul_lo_u32 v18, s18, v14
	v_mad_u64_u32 v[10:11], s[0:1], s18, v13, 0
	v_xor_b32_e32 v7, s16, v7
	v_add3_u32 v11, v11, v18, v17
	v_sub_u32_e32 v17, v16, v11
	v_mov_b32_e32 v18, s19
	v_sub_co_u32_e32 v10, vcc, v15, v10
	v_subb_co_u32_e64 v15, s[0:1], v17, v18, vcc
	v_subrev_co_u32_e64 v17, s[0:1], s18, v10
	v_subbrev_co_u32_e64 v15, s[0:1], 0, v15, s[0:1]
	v_cmp_le_u32_e64 s[0:1], s19, v15
	v_cndmask_b32_e64 v18, 0, -1, s[0:1]
	v_cmp_le_u32_e64 s[0:1], s18, v17
	v_cndmask_b32_e64 v17, 0, -1, s[0:1]
	v_cmp_eq_u32_e64 s[0:1], s19, v15
	v_cndmask_b32_e64 v15, v18, v17, s[0:1]
	v_add_co_u32_e64 v17, s[0:1], 2, v13
	v_subb_co_u32_e32 v11, vcc, v16, v11, vcc
	v_addc_co_u32_e64 v18, s[0:1], 0, v14, s[0:1]
	v_cmp_le_u32_e32 vcc, s19, v11
	v_add_co_u32_e64 v19, s[0:1], 1, v13
	v_cndmask_b32_e64 v16, 0, -1, vcc
	v_cmp_le_u32_e32 vcc, s18, v10
	v_addc_co_u32_e64 v20, s[0:1], 0, v14, s[0:1]
	v_cndmask_b32_e64 v10, 0, -1, vcc
	v_cmp_eq_u32_e32 vcc, s19, v11
	v_cmp_ne_u32_e64 s[0:1], 0, v15
	v_cndmask_b32_e32 v10, v16, v10, vcc
	v_cndmask_b32_e64 v15, v20, v18, s[0:1]
	v_cmp_ne_u32_e32 vcc, 0, v10
	v_cndmask_b32_e64 v11, v19, v17, s[0:1]
	v_cndmask_b32_e32 v10, v14, v15, vcc
	v_cndmask_b32_e32 v11, v13, v11, vcc
	v_xor_b32_e32 v13, v10, v7
	v_xor_b32_e32 v10, v11, v7
	v_sub_co_u32_e32 v10, vcc, v10, v7
	v_subb_co_u32_e32 v11, vcc, v13, v7, vcc
.LBB16_5:                               ;   in Loop: Header=BB16_3 Depth=1
	s_andn2_saveexec_b64 s[0:1], s[14:15]
	s_cbranch_execz .LBB16_7
; %bb.6:                                ;   in Loop: Header=BB16_3 Depth=1
	v_cvt_f32_u32_e32 v7, s12
	s_sub_i32 s14, 0, s12
	v_rcp_iflag_f32_e32 v7, v7
	v_mul_f32_e32 v7, 0x4f7ffffe, v7
	v_cvt_u32_f32_e32 v7, v7
	v_mul_lo_u32 v10, s14, v7
	v_mul_hi_u32 v10, v7, v10
	v_add_u32_e32 v7, v7, v10
	v_mul_hi_u32 v7, v8, v7
	v_mul_lo_u32 v10, v7, s12
	v_add_u32_e32 v11, 1, v7
	v_sub_u32_e32 v10, v8, v10
	v_subrev_u32_e32 v13, s12, v10
	v_cmp_le_u32_e32 vcc, s12, v10
	v_cndmask_b32_e32 v10, v10, v13, vcc
	v_cndmask_b32_e32 v7, v7, v11, vcc
	v_add_u32_e32 v11, 1, v7
	v_cmp_le_u32_e32 vcc, s12, v10
	v_cndmask_b32_e32 v10, v7, v11, vcc
	v_mov_b32_e32 v11, v6
.LBB16_7:                               ;   in Loop: Header=BB16_3 Depth=1
	s_or_b64 exec, exec, s[0:1]
	v_mul_lo_u32 v7, v11, s12
	v_mul_lo_u32 v15, v10, s13
	v_mad_u64_u32 v[13:14], s[0:1], v10, s12, 0
	s_load_dwordx2 s[0:1], s[6:7], 0xc8
	s_add_i32 s21, s21, -1
	v_add3_u32 v7, v14, v15, v7
	v_sub_co_u32_e32 v8, vcc, v8, v13
	v_subb_co_u32_e32 v7, vcc, v9, v7, vcc
	s_waitcnt lgkmcnt(0)
	v_mul_lo_u32 v7, s0, v7
	v_mul_lo_u32 v9, s1, v8
	v_mad_u64_u32 v[4:5], s[0:1], s0, v8, v[4:5]
	s_add_u32 s6, s6, -8
	s_addc_u32 s7, s7, -1
	s_cmp_gt_u32 s21, 2
	v_add3_u32 v5, v9, v5, v7
	s_cbranch_scc0 .LBB16_10
; %bb.8:                                ;   in Loop: Header=BB16_3 Depth=1
	v_mov_b32_e32 v8, v10
	v_mov_b32_e32 v9, v11
	s_branch .LBB16_3
.LBB16_9:
	v_mov_b32_e32 v11, v1
	v_mov_b32_e32 v10, v0
.LBB16_10:
	s_load_dwordx2 s[6:7], s[4:5], 0x1a8
	s_load_dword s1, s[2:3], 0xd0
	s_load_dwordx2 s[12:13], s[2:3], 0x0
	v_mul_lo_u32 v3, v3, s11
	v_mul_lo_u32 v8, v2, s8
	s_ashr_i32 s0, s20, 31
	s_waitcnt lgkmcnt(0)
	v_mad_u64_u32 v[4:5], s[2:3], s1, v10, v[4:5]
	v_mov_b32_e32 v5, 0
	v_mov_b32_e32 v7, s13
	;; [unrolled: 1-line block ×3, first 2 shown]
	v_ashrrev_i64 v[4:5], 29, v[5:6]
	s_load_dwordx2 s[2:3], s[4:5], 0x0
	v_add_co_u32_e32 v4, vcc, s12, v4
	v_addc_co_u32_e32 v5, vcc, v7, v5, vcc
	global_load_dwordx2 v[4:5], v[4:5], off
	v_lshlrev_b64 v[6:7], 3, v[0:1]
	v_sub_u32_e32 v0, v12, v3
	v_sub_u32_e32 v3, v12, v8
	v_add_u32_e32 v9, 1, v2
	v_cmp_le_u32_e32 vcc, s8, v3
	v_xor_b32_e32 v10, s0, v1
	v_subrev_u32_e32 v8, s11, v0
	v_cndmask_b32_e32 v2, v2, v9, vcc
	v_subrev_u32_e32 v9, s8, v3
	v_cmp_le_u32_e64 s[0:1], s11, v0
	s_waitcnt lgkmcnt(0)
	v_mov_b32_e32 v12, s3
	v_cndmask_b32_e64 v0, v0, v8, s[0:1]
	v_cndmask_b32_e32 v3, v3, v9, vcc
	v_add_co_u32_e32 v8, vcc, s2, v6
	v_addc_co_u32_e32 v9, vcc, v12, v7, vcc
	v_add_u32_e32 v13, 1, v2
	v_cmp_le_u32_e32 vcc, s8, v3
	v_subrev_u32_e32 v6, s11, v0
	v_cndmask_b32_e32 v2, v2, v13, vcc
	v_cmp_le_u32_e32 vcc, s11, v0
	v_cndmask_b32_e32 v0, v0, v6, vcc
	v_xor_b32_e32 v2, v2, v10
	s_mul_i32 s4, s10, s9
	v_xor_b32_e32 v3, v0, v1
	v_sub_u32_e32 v0, v2, v10
	v_mul_lo_u32 v0, s4, v0
	s_ashr_i32 s5, s9, 31
	v_sub_u32_e32 v1, v3, v1
	v_ashrrev_i32_e32 v2, 31, v1
	v_lshlrev_b64 v[2:3], 3, v[1:2]
	v_ashrrev_i32_e32 v1, 31, v0
	v_lshlrev_b64 v[0:1], 3, v[0:1]
	v_mov_b32_e32 v11, s7
	v_add_co_u32_e32 v10, vcc, s6, v0
	v_addc_co_u32_e32 v11, vcc, v11, v1, vcc
	s_waitcnt vmcnt(0)
	v_mul_lo_u32 v6, v4, s5
	v_mul_lo_u32 v7, v5, s9
	v_mad_u64_u32 v[4:5], s[0:1], v4, s9, 0
	s_mov_b64 s[0:1], 0
	v_add3_u32 v5, v5, v6, v7
	v_lshlrev_b64 v[0:1], 3, v[4:5]
	v_add_co_u32_e32 v0, vcc, v10, v0
	v_addc_co_u32_e32 v1, vcc, v11, v1, vcc
	v_add_co_u32_e32 v4, vcc, v0, v2
	v_addc_co_u32_e32 v5, vcc, v1, v3, vcc
	global_load_dwordx2 v[6:7], v[8:9], off
	global_load_dwordx2 v[2:3], v[4:5], off glc
.LBB16_11:                              ; =>This Inner Loop Header: Depth=1
	s_waitcnt vmcnt(0)
	v_div_scale_f64 v[0:1], s[2:3], v[6:7], v[6:7], v[2:3]
	v_rcp_f64_e32 v[8:9], v[0:1]
	v_fma_f64 v[10:11], -v[0:1], v[8:9], 1.0
	v_fma_f64 v[8:9], v[8:9], v[10:11], v[8:9]
	v_div_scale_f64 v[10:11], vcc, v[2:3], v[6:7], v[2:3]
	v_fma_f64 v[12:13], -v[0:1], v[8:9], 1.0
	v_fma_f64 v[8:9], v[8:9], v[12:13], v[8:9]
	v_mul_f64 v[12:13], v[10:11], v[8:9]
	v_fma_f64 v[0:1], -v[0:1], v[12:13], v[10:11]
	v_div_fmas_f64 v[0:1], v[0:1], v[8:9], v[12:13]
	v_div_fixup_f64 v[0:1], v[0:1], v[6:7], v[2:3]
	global_atomic_cmpswap_x2 v[0:1], v[4:5], v[0:3], off glc
	s_waitcnt vmcnt(0)
	v_cmp_eq_u64_e32 vcc, v[2:3], v[0:1]
	v_mov_b32_e32 v3, v1
	s_or_b64 s[0:1], vcc, s[0:1]
	v_mov_b32_e32 v2, v0
	s_andn2_b64 exec, exec, s[0:1]
	s_cbranch_execnz .LBB16_11
.LBB16_12:
	s_endpgm
	.section	.rodata,"a",@progbits
	.p2align	6, 0x0
	.amdhsa_kernel _Z14scatter_kernelIdL13ReductionType2EEvPKT_10TensorInfoIllEPS1_iiii
		.amdhsa_group_segment_fixed_size 0
		.amdhsa_private_segment_fixed_size 0
		.amdhsa_kernarg_size 704
		.amdhsa_user_sgpr_count 6
		.amdhsa_user_sgpr_private_segment_buffer 1
		.amdhsa_user_sgpr_dispatch_ptr 0
		.amdhsa_user_sgpr_queue_ptr 0
		.amdhsa_user_sgpr_kernarg_segment_ptr 1
		.amdhsa_user_sgpr_dispatch_id 0
		.amdhsa_user_sgpr_flat_scratch_init 0
		.amdhsa_user_sgpr_private_segment_size 0
		.amdhsa_uses_dynamic_stack 0
		.amdhsa_system_sgpr_private_segment_wavefront_offset 0
		.amdhsa_system_sgpr_workgroup_id_x 1
		.amdhsa_system_sgpr_workgroup_id_y 0
		.amdhsa_system_sgpr_workgroup_id_z 0
		.amdhsa_system_sgpr_workgroup_info 0
		.amdhsa_system_vgpr_workitem_id 0
		.amdhsa_next_free_vgpr 21
		.amdhsa_next_free_sgpr 29
		.amdhsa_reserve_vcc 1
		.amdhsa_reserve_flat_scratch 0
		.amdhsa_float_round_mode_32 0
		.amdhsa_float_round_mode_16_64 0
		.amdhsa_float_denorm_mode_32 3
		.amdhsa_float_denorm_mode_16_64 3
		.amdhsa_dx10_clamp 1
		.amdhsa_ieee_mode 1
		.amdhsa_fp16_overflow 0
		.amdhsa_exception_fp_ieee_invalid_op 0
		.amdhsa_exception_fp_denorm_src 0
		.amdhsa_exception_fp_ieee_div_zero 0
		.amdhsa_exception_fp_ieee_overflow 0
		.amdhsa_exception_fp_ieee_underflow 0
		.amdhsa_exception_fp_ieee_inexact 0
		.amdhsa_exception_int_div_zero 0
	.end_amdhsa_kernel
	.section	.text._Z14scatter_kernelIdL13ReductionType2EEvPKT_10TensorInfoIllEPS1_iiii,"axG",@progbits,_Z14scatter_kernelIdL13ReductionType2EEvPKT_10TensorInfoIllEPS1_iiii,comdat
.Lfunc_end16:
	.size	_Z14scatter_kernelIdL13ReductionType2EEvPKT_10TensorInfoIllEPS1_iiii, .Lfunc_end16-_Z14scatter_kernelIdL13ReductionType2EEvPKT_10TensorInfoIllEPS1_iiii
                                        ; -- End function
	.set _Z14scatter_kernelIdL13ReductionType2EEvPKT_10TensorInfoIllEPS1_iiii.num_vgpr, 21
	.set _Z14scatter_kernelIdL13ReductionType2EEvPKT_10TensorInfoIllEPS1_iiii.num_agpr, 0
	.set _Z14scatter_kernelIdL13ReductionType2EEvPKT_10TensorInfoIllEPS1_iiii.numbered_sgpr, 29
	.set _Z14scatter_kernelIdL13ReductionType2EEvPKT_10TensorInfoIllEPS1_iiii.num_named_barrier, 0
	.set _Z14scatter_kernelIdL13ReductionType2EEvPKT_10TensorInfoIllEPS1_iiii.private_seg_size, 0
	.set _Z14scatter_kernelIdL13ReductionType2EEvPKT_10TensorInfoIllEPS1_iiii.uses_vcc, 1
	.set _Z14scatter_kernelIdL13ReductionType2EEvPKT_10TensorInfoIllEPS1_iiii.uses_flat_scratch, 0
	.set _Z14scatter_kernelIdL13ReductionType2EEvPKT_10TensorInfoIllEPS1_iiii.has_dyn_sized_stack, 0
	.set _Z14scatter_kernelIdL13ReductionType2EEvPKT_10TensorInfoIllEPS1_iiii.has_recursion, 0
	.set _Z14scatter_kernelIdL13ReductionType2EEvPKT_10TensorInfoIllEPS1_iiii.has_indirect_call, 0
	.section	.AMDGPU.csdata,"",@progbits
; Kernel info:
; codeLenInByte = 1612
; TotalNumSgprs: 33
; NumVgprs: 21
; ScratchSize: 0
; MemoryBound: 0
; FloatMode: 240
; IeeeMode: 1
; LDSByteSize: 0 bytes/workgroup (compile time only)
; SGPRBlocks: 4
; VGPRBlocks: 5
; NumSGPRsForWavesPerEU: 33
; NumVGPRsForWavesPerEU: 21
; Occupancy: 10
; WaveLimiterHint : 1
; COMPUTE_PGM_RSRC2:SCRATCH_EN: 0
; COMPUTE_PGM_RSRC2:USER_SGPR: 6
; COMPUTE_PGM_RSRC2:TRAP_HANDLER: 0
; COMPUTE_PGM_RSRC2:TGID_X_EN: 1
; COMPUTE_PGM_RSRC2:TGID_Y_EN: 0
; COMPUTE_PGM_RSRC2:TGID_Z_EN: 0
; COMPUTE_PGM_RSRC2:TIDIG_COMP_CNT: 0
	.section	.text._Z14scatter_kernelIdL13ReductionType0EEvPKT_10TensorInfoIllEPS1_iiii,"axG",@progbits,_Z14scatter_kernelIdL13ReductionType0EEvPKT_10TensorInfoIllEPS1_iiii,comdat
	.protected	_Z14scatter_kernelIdL13ReductionType0EEvPKT_10TensorInfoIllEPS1_iiii ; -- Begin function _Z14scatter_kernelIdL13ReductionType0EEvPKT_10TensorInfoIllEPS1_iiii
	.globl	_Z14scatter_kernelIdL13ReductionType0EEvPKT_10TensorInfoIllEPS1_iiii
	.p2align	8
	.type	_Z14scatter_kernelIdL13ReductionType0EEvPKT_10TensorInfoIllEPS1_iiii,@function
_Z14scatter_kernelIdL13ReductionType0EEvPKT_10TensorInfoIllEPS1_iiii: ; @_Z14scatter_kernelIdL13ReductionType0EEvPKT_10TensorInfoIllEPS1_iiii
; %bb.0:
	s_load_dword s0, s[4:5], 0x1cc
	s_load_dwordx4 s[8:11], s[4:5], 0x1b0
	s_waitcnt lgkmcnt(0)
	s_and_b32 s0, s0, 0xffff
	s_mul_i32 s6, s6, s0
	v_add_u32_e32 v0, s6, v0
	v_cmp_gt_i32_e32 vcc, s11, v0
	s_and_saveexec_b64 s[0:1], vcc
	s_cbranch_execz .LBB17_12
; %bb.1:
	s_add_u32 s2, s4, 8
	s_addc_u32 s3, s5, 0
	s_abs_i32 s11, s9
	s_mul_i32 s20, s9, s8
	v_cvt_f32_u32_e32 v1, s11
	s_abs_i32 s8, s20
	v_cvt_f32_u32_e32 v2, s8
	s_sub_i32 s0, 0, s11
	v_rcp_iflag_f32_e32 v1, v1
	v_sub_u32_e32 v5, 0, v0
	v_rcp_iflag_f32_e32 v2, v2
	v_max_i32_e32 v12, v0, v5
	v_mul_f32_e32 v1, 0x4f7ffffe, v1
	v_cvt_u32_f32_e32 v1, v1
	v_mul_f32_e32 v2, 0x4f7ffffe, v2
	v_cvt_u32_f32_e32 v4, v2
	s_mov_b32 s1, 0
	v_mul_lo_u32 v2, s0, v1
	s_sub_i32 s0, 0, s8
	v_mul_lo_u32 v3, s0, v4
	s_load_dword s0, s[4:5], 0x1a0
	v_mul_hi_u32 v2, v1, v2
	v_mul_hi_u32 v5, v4, v3
	v_add_u32_e32 v1, v1, v2
	v_mad_u64_u32 v[2:3], s[6:7], v12, v1, 0
	v_add_u32_e32 v1, v4, v5
	v_mad_u64_u32 v[1:2], s[6:7], v12, v1, 0
	v_mov_b32_e32 v4, 0
	s_waitcnt lgkmcnt(0)
	s_cmp_lt_i32 s0, 2
	v_ashrrev_i32_e32 v1, 31, v0
	v_mov_b32_e32 v5, 0
	s_cbranch_scc1 .LBB17_9
; %bb.2:
	s_add_i32 s21, s0, 1
	s_add_i32 s0, s0, -1
	s_lshl_b64 s[0:1], s[0:1], 3
	s_add_u32 s0, s2, s0
	s_addc_u32 s1, s3, s1
	s_add_u32 s6, s0, 8
	v_mov_b32_e32 v4, 0
	v_mov_b32_e32 v9, v1
	s_addc_u32 s7, s1, 0
	v_mov_b32_e32 v5, 0
	v_mov_b32_e32 v6, 0
	;; [unrolled: 1-line block ×3, first 2 shown]
.LBB17_3:                               ; =>This Inner Loop Header: Depth=1
	s_load_dwordx2 s[12:13], s[6:7], 0x0
                                        ; implicit-def: $vgpr10_vgpr11
	s_waitcnt lgkmcnt(0)
	v_or_b32_e32 v7, s13, v9
	v_cmp_ne_u64_e32 vcc, 0, v[6:7]
	s_and_saveexec_b64 s[0:1], vcc
	s_xor_b64 s[14:15], exec, s[0:1]
	s_cbranch_execz .LBB17_5
; %bb.4:                                ;   in Loop: Header=BB17_3 Depth=1
	s_ashr_i32 s16, s13, 31
	s_add_u32 s0, s12, s16
	s_mov_b32 s17, s16
	s_addc_u32 s1, s13, s16
	s_xor_b64 s[18:19], s[0:1], s[16:17]
	v_cvt_f32_u32_e32 v7, s18
	v_cvt_f32_u32_e32 v10, s19
	s_sub_u32 s17, 0, s18
	s_subb_u32 s22, 0, s19
	v_mac_f32_e32 v7, 0x4f800000, v10
	v_rcp_f32_e32 v7, v7
	v_mul_f32_e32 v7, 0x5f7ffffc, v7
	v_mul_f32_e32 v10, 0x2f800000, v7
	v_trunc_f32_e32 v10, v10
	v_mac_f32_e32 v7, 0xcf800000, v10
	v_cvt_u32_f32_e32 v10, v10
	v_cvt_u32_f32_e32 v7, v7
	v_readfirstlane_b32 s23, v10
	v_readfirstlane_b32 s0, v7
	s_mul_i32 s1, s17, s23
	s_mul_hi_u32 s25, s17, s0
	s_mul_i32 s24, s22, s0
	s_add_i32 s1, s25, s1
	s_add_i32 s1, s1, s24
	s_mul_i32 s26, s17, s0
	s_mul_i32 s25, s0, s1
	s_mul_hi_u32 s27, s0, s26
	s_mul_hi_u32 s24, s0, s1
	s_add_u32 s25, s27, s25
	s_addc_u32 s24, 0, s24
	s_mul_hi_u32 s28, s23, s26
	s_mul_i32 s26, s23, s26
	s_add_u32 s25, s25, s26
	s_mul_hi_u32 s27, s23, s1
	s_addc_u32 s24, s24, s28
	s_addc_u32 s25, s27, 0
	s_mul_i32 s1, s23, s1
	s_add_u32 s1, s24, s1
	s_addc_u32 s24, 0, s25
	s_add_u32 s25, s0, s1
	s_cselect_b64 s[0:1], -1, 0
	s_cmp_lg_u64 s[0:1], 0
	s_addc_u32 s23, s23, s24
	s_mul_i32 s0, s17, s23
	s_mul_hi_u32 s1, s17, s25
	s_add_i32 s0, s1, s0
	s_mul_i32 s22, s22, s25
	s_add_i32 s0, s0, s22
	s_mul_i32 s17, s17, s25
	s_mul_hi_u32 s22, s23, s17
	s_mul_i32 s24, s23, s17
	s_mul_i32 s27, s25, s0
	s_mul_hi_u32 s17, s25, s17
	s_mul_hi_u32 s26, s25, s0
	s_add_u32 s17, s17, s27
	s_addc_u32 s26, 0, s26
	s_add_u32 s17, s17, s24
	s_mul_hi_u32 s1, s23, s0
	s_addc_u32 s17, s26, s22
	s_addc_u32 s1, s1, 0
	s_mul_i32 s0, s23, s0
	s_add_u32 s0, s17, s0
	s_addc_u32 s17, 0, s1
	s_add_u32 s22, s25, s0
	s_cselect_b64 s[0:1], -1, 0
	v_ashrrev_i32_e32 v7, 31, v9
	s_cmp_lg_u64 s[0:1], 0
	v_add_co_u32_e32 v10, vcc, v8, v7
	s_addc_u32 s17, s23, s17
	v_xor_b32_e32 v15, v10, v7
	v_mad_u64_u32 v[10:11], s[0:1], v15, s17, 0
	v_mul_hi_u32 v14, v15, s22
	v_addc_co_u32_e32 v13, vcc, v9, v7, vcc
	v_xor_b32_e32 v16, v13, v7
	v_add_co_u32_e32 v17, vcc, v14, v10
	v_addc_co_u32_e32 v18, vcc, 0, v11, vcc
	v_mad_u64_u32 v[10:11], s[0:1], v16, s22, 0
	v_mad_u64_u32 v[13:14], s[0:1], v16, s17, 0
	v_add_co_u32_e32 v10, vcc, v17, v10
	v_addc_co_u32_e32 v10, vcc, v18, v11, vcc
	v_addc_co_u32_e32 v11, vcc, 0, v14, vcc
	v_add_co_u32_e32 v13, vcc, v10, v13
	v_addc_co_u32_e32 v14, vcc, 0, v11, vcc
	v_mul_lo_u32 v17, s19, v13
	v_mul_lo_u32 v18, s18, v14
	v_mad_u64_u32 v[10:11], s[0:1], s18, v13, 0
	v_xor_b32_e32 v7, s16, v7
	v_add3_u32 v11, v11, v18, v17
	v_sub_u32_e32 v17, v16, v11
	v_mov_b32_e32 v18, s19
	v_sub_co_u32_e32 v10, vcc, v15, v10
	v_subb_co_u32_e64 v15, s[0:1], v17, v18, vcc
	v_subrev_co_u32_e64 v17, s[0:1], s18, v10
	v_subbrev_co_u32_e64 v15, s[0:1], 0, v15, s[0:1]
	v_cmp_le_u32_e64 s[0:1], s19, v15
	v_cndmask_b32_e64 v18, 0, -1, s[0:1]
	v_cmp_le_u32_e64 s[0:1], s18, v17
	v_cndmask_b32_e64 v17, 0, -1, s[0:1]
	v_cmp_eq_u32_e64 s[0:1], s19, v15
	v_cndmask_b32_e64 v15, v18, v17, s[0:1]
	v_add_co_u32_e64 v17, s[0:1], 2, v13
	v_subb_co_u32_e32 v11, vcc, v16, v11, vcc
	v_addc_co_u32_e64 v18, s[0:1], 0, v14, s[0:1]
	v_cmp_le_u32_e32 vcc, s19, v11
	v_add_co_u32_e64 v19, s[0:1], 1, v13
	v_cndmask_b32_e64 v16, 0, -1, vcc
	v_cmp_le_u32_e32 vcc, s18, v10
	v_addc_co_u32_e64 v20, s[0:1], 0, v14, s[0:1]
	v_cndmask_b32_e64 v10, 0, -1, vcc
	v_cmp_eq_u32_e32 vcc, s19, v11
	v_cmp_ne_u32_e64 s[0:1], 0, v15
	v_cndmask_b32_e32 v10, v16, v10, vcc
	v_cndmask_b32_e64 v15, v20, v18, s[0:1]
	v_cmp_ne_u32_e32 vcc, 0, v10
	v_cndmask_b32_e64 v11, v19, v17, s[0:1]
	v_cndmask_b32_e32 v10, v14, v15, vcc
	v_cndmask_b32_e32 v11, v13, v11, vcc
	v_xor_b32_e32 v13, v10, v7
	v_xor_b32_e32 v10, v11, v7
	v_sub_co_u32_e32 v10, vcc, v10, v7
	v_subb_co_u32_e32 v11, vcc, v13, v7, vcc
.LBB17_5:                               ;   in Loop: Header=BB17_3 Depth=1
	s_andn2_saveexec_b64 s[0:1], s[14:15]
	s_cbranch_execz .LBB17_7
; %bb.6:                                ;   in Loop: Header=BB17_3 Depth=1
	v_cvt_f32_u32_e32 v7, s12
	s_sub_i32 s14, 0, s12
	v_rcp_iflag_f32_e32 v7, v7
	v_mul_f32_e32 v7, 0x4f7ffffe, v7
	v_cvt_u32_f32_e32 v7, v7
	v_mul_lo_u32 v10, s14, v7
	v_mul_hi_u32 v10, v7, v10
	v_add_u32_e32 v7, v7, v10
	v_mul_hi_u32 v7, v8, v7
	v_mul_lo_u32 v10, v7, s12
	v_add_u32_e32 v11, 1, v7
	v_sub_u32_e32 v10, v8, v10
	v_subrev_u32_e32 v13, s12, v10
	v_cmp_le_u32_e32 vcc, s12, v10
	v_cndmask_b32_e32 v10, v10, v13, vcc
	v_cndmask_b32_e32 v7, v7, v11, vcc
	v_add_u32_e32 v11, 1, v7
	v_cmp_le_u32_e32 vcc, s12, v10
	v_cndmask_b32_e32 v10, v7, v11, vcc
	v_mov_b32_e32 v11, v6
.LBB17_7:                               ;   in Loop: Header=BB17_3 Depth=1
	s_or_b64 exec, exec, s[0:1]
	v_mul_lo_u32 v7, v11, s12
	v_mul_lo_u32 v15, v10, s13
	v_mad_u64_u32 v[13:14], s[0:1], v10, s12, 0
	s_load_dwordx2 s[0:1], s[6:7], 0xc8
	s_add_i32 s21, s21, -1
	v_add3_u32 v7, v14, v15, v7
	v_sub_co_u32_e32 v8, vcc, v8, v13
	v_subb_co_u32_e32 v7, vcc, v9, v7, vcc
	s_waitcnt lgkmcnt(0)
	v_mul_lo_u32 v7, s0, v7
	v_mul_lo_u32 v9, s1, v8
	v_mad_u64_u32 v[4:5], s[0:1], s0, v8, v[4:5]
	s_add_u32 s6, s6, -8
	s_addc_u32 s7, s7, -1
	s_cmp_gt_u32 s21, 2
	v_add3_u32 v5, v9, v5, v7
	s_cbranch_scc0 .LBB17_10
; %bb.8:                                ;   in Loop: Header=BB17_3 Depth=1
	v_mov_b32_e32 v8, v10
	v_mov_b32_e32 v9, v11
	s_branch .LBB17_3
.LBB17_9:
	v_mov_b32_e32 v11, v1
	v_mov_b32_e32 v10, v0
.LBB17_10:
	s_load_dwordx2 s[6:7], s[4:5], 0x1a8
	s_load_dword s1, s[2:3], 0xd0
	s_load_dwordx2 s[12:13], s[2:3], 0x0
	v_mul_lo_u32 v3, v3, s11
	v_mul_lo_u32 v8, v2, s8
	s_ashr_i32 s0, s20, 31
	s_waitcnt lgkmcnt(0)
	v_mad_u64_u32 v[4:5], s[2:3], s1, v10, v[4:5]
	v_mov_b32_e32 v5, 0
	v_mov_b32_e32 v7, s13
	;; [unrolled: 1-line block ×3, first 2 shown]
	v_ashrrev_i64 v[4:5], 29, v[5:6]
	s_load_dwordx2 s[2:3], s[4:5], 0x0
	v_add_co_u32_e32 v4, vcc, s12, v4
	v_addc_co_u32_e32 v5, vcc, v7, v5, vcc
	global_load_dwordx2 v[4:5], v[4:5], off
	v_lshlrev_b64 v[6:7], 3, v[0:1]
	v_sub_u32_e32 v0, v12, v3
	v_sub_u32_e32 v3, v12, v8
	v_add_u32_e32 v9, 1, v2
	v_cmp_le_u32_e32 vcc, s8, v3
	v_xor_b32_e32 v10, s0, v1
	v_subrev_u32_e32 v8, s11, v0
	v_cndmask_b32_e32 v2, v2, v9, vcc
	v_subrev_u32_e32 v9, s8, v3
	v_cmp_le_u32_e64 s[0:1], s11, v0
	s_waitcnt lgkmcnt(0)
	v_mov_b32_e32 v12, s3
	v_cndmask_b32_e64 v0, v0, v8, s[0:1]
	v_cndmask_b32_e32 v3, v3, v9, vcc
	v_add_co_u32_e32 v8, vcc, s2, v6
	v_addc_co_u32_e32 v9, vcc, v12, v7, vcc
	v_add_u32_e32 v13, 1, v2
	v_cmp_le_u32_e32 vcc, s8, v3
	v_subrev_u32_e32 v6, s11, v0
	v_cndmask_b32_e32 v2, v2, v13, vcc
	v_cmp_le_u32_e32 vcc, s11, v0
	v_cndmask_b32_e32 v0, v0, v6, vcc
	v_xor_b32_e32 v2, v2, v10
	s_mul_i32 s4, s10, s9
	v_xor_b32_e32 v3, v0, v1
	v_sub_u32_e32 v0, v2, v10
	v_mul_lo_u32 v0, s4, v0
	s_ashr_i32 s5, s9, 31
	v_sub_u32_e32 v1, v3, v1
	v_ashrrev_i32_e32 v2, 31, v1
	v_lshlrev_b64 v[2:3], 3, v[1:2]
	v_ashrrev_i32_e32 v1, 31, v0
	v_lshlrev_b64 v[0:1], 3, v[0:1]
	v_mov_b32_e32 v11, s7
	v_add_co_u32_e32 v10, vcc, s6, v0
	v_addc_co_u32_e32 v11, vcc, v11, v1, vcc
	s_waitcnt vmcnt(0)
	v_mul_lo_u32 v6, v4, s5
	v_mul_lo_u32 v7, v5, s9
	v_mad_u64_u32 v[4:5], s[0:1], v4, s9, 0
	s_mov_b64 s[0:1], 0
	v_add3_u32 v5, v5, v6, v7
	v_lshlrev_b64 v[0:1], 3, v[4:5]
	v_add_co_u32_e32 v0, vcc, v10, v0
	v_addc_co_u32_e32 v1, vcc, v11, v1, vcc
	v_add_co_u32_e32 v4, vcc, v0, v2
	v_addc_co_u32_e32 v5, vcc, v1, v3, vcc
	global_load_dwordx2 v[6:7], v[8:9], off
	global_load_dwordx2 v[2:3], v[4:5], off
.LBB17_11:                              ; =>This Inner Loop Header: Depth=1
	s_waitcnt vmcnt(0)
	v_add_f64 v[0:1], v[2:3], v[6:7]
	global_atomic_cmpswap_x2 v[0:1], v[4:5], v[0:3], off glc
	s_waitcnt vmcnt(0)
	v_cmp_eq_u64_e32 vcc, v[0:1], v[2:3]
	v_mov_b32_e32 v3, v1
	s_or_b64 s[0:1], vcc, s[0:1]
	v_mov_b32_e32 v2, v0
	s_andn2_b64 exec, exec, s[0:1]
	s_cbranch_execnz .LBB17_11
.LBB17_12:
	s_endpgm
	.section	.rodata,"a",@progbits
	.p2align	6, 0x0
	.amdhsa_kernel _Z14scatter_kernelIdL13ReductionType0EEvPKT_10TensorInfoIllEPS1_iiii
		.amdhsa_group_segment_fixed_size 0
		.amdhsa_private_segment_fixed_size 0
		.amdhsa_kernarg_size 704
		.amdhsa_user_sgpr_count 6
		.amdhsa_user_sgpr_private_segment_buffer 1
		.amdhsa_user_sgpr_dispatch_ptr 0
		.amdhsa_user_sgpr_queue_ptr 0
		.amdhsa_user_sgpr_kernarg_segment_ptr 1
		.amdhsa_user_sgpr_dispatch_id 0
		.amdhsa_user_sgpr_flat_scratch_init 0
		.amdhsa_user_sgpr_private_segment_size 0
		.amdhsa_uses_dynamic_stack 0
		.amdhsa_system_sgpr_private_segment_wavefront_offset 0
		.amdhsa_system_sgpr_workgroup_id_x 1
		.amdhsa_system_sgpr_workgroup_id_y 0
		.amdhsa_system_sgpr_workgroup_id_z 0
		.amdhsa_system_sgpr_workgroup_info 0
		.amdhsa_system_vgpr_workitem_id 0
		.amdhsa_next_free_vgpr 21
		.amdhsa_next_free_sgpr 29
		.amdhsa_reserve_vcc 1
		.amdhsa_reserve_flat_scratch 0
		.amdhsa_float_round_mode_32 0
		.amdhsa_float_round_mode_16_64 0
		.amdhsa_float_denorm_mode_32 3
		.amdhsa_float_denorm_mode_16_64 3
		.amdhsa_dx10_clamp 1
		.amdhsa_ieee_mode 1
		.amdhsa_fp16_overflow 0
		.amdhsa_exception_fp_ieee_invalid_op 0
		.amdhsa_exception_fp_denorm_src 0
		.amdhsa_exception_fp_ieee_div_zero 0
		.amdhsa_exception_fp_ieee_overflow 0
		.amdhsa_exception_fp_ieee_underflow 0
		.amdhsa_exception_fp_ieee_inexact 0
		.amdhsa_exception_int_div_zero 0
	.end_amdhsa_kernel
	.section	.text._Z14scatter_kernelIdL13ReductionType0EEvPKT_10TensorInfoIllEPS1_iiii,"axG",@progbits,_Z14scatter_kernelIdL13ReductionType0EEvPKT_10TensorInfoIllEPS1_iiii,comdat
.Lfunc_end17:
	.size	_Z14scatter_kernelIdL13ReductionType0EEvPKT_10TensorInfoIllEPS1_iiii, .Lfunc_end17-_Z14scatter_kernelIdL13ReductionType0EEvPKT_10TensorInfoIllEPS1_iiii
                                        ; -- End function
	.set _Z14scatter_kernelIdL13ReductionType0EEvPKT_10TensorInfoIllEPS1_iiii.num_vgpr, 21
	.set _Z14scatter_kernelIdL13ReductionType0EEvPKT_10TensorInfoIllEPS1_iiii.num_agpr, 0
	.set _Z14scatter_kernelIdL13ReductionType0EEvPKT_10TensorInfoIllEPS1_iiii.numbered_sgpr, 29
	.set _Z14scatter_kernelIdL13ReductionType0EEvPKT_10TensorInfoIllEPS1_iiii.num_named_barrier, 0
	.set _Z14scatter_kernelIdL13ReductionType0EEvPKT_10TensorInfoIllEPS1_iiii.private_seg_size, 0
	.set _Z14scatter_kernelIdL13ReductionType0EEvPKT_10TensorInfoIllEPS1_iiii.uses_vcc, 1
	.set _Z14scatter_kernelIdL13ReductionType0EEvPKT_10TensorInfoIllEPS1_iiii.uses_flat_scratch, 0
	.set _Z14scatter_kernelIdL13ReductionType0EEvPKT_10TensorInfoIllEPS1_iiii.has_dyn_sized_stack, 0
	.set _Z14scatter_kernelIdL13ReductionType0EEvPKT_10TensorInfoIllEPS1_iiii.has_recursion, 0
	.set _Z14scatter_kernelIdL13ReductionType0EEvPKT_10TensorInfoIllEPS1_iiii.has_indirect_call, 0
	.section	.AMDGPU.csdata,"",@progbits
; Kernel info:
; codeLenInByte = 1536
; TotalNumSgprs: 33
; NumVgprs: 21
; ScratchSize: 0
; MemoryBound: 0
; FloatMode: 240
; IeeeMode: 1
; LDSByteSize: 0 bytes/workgroup (compile time only)
; SGPRBlocks: 4
; VGPRBlocks: 5
; NumSGPRsForWavesPerEU: 33
; NumVGPRsForWavesPerEU: 21
; Occupancy: 10
; WaveLimiterHint : 1
; COMPUTE_PGM_RSRC2:SCRATCH_EN: 0
; COMPUTE_PGM_RSRC2:USER_SGPR: 6
; COMPUTE_PGM_RSRC2:TRAP_HANDLER: 0
; COMPUTE_PGM_RSRC2:TGID_X_EN: 1
; COMPUTE_PGM_RSRC2:TGID_Y_EN: 0
; COMPUTE_PGM_RSRC2:TGID_Z_EN: 0
; COMPUTE_PGM_RSRC2:TIDIG_COMP_CNT: 0
	.section	.text._Z14scatter_kernelIdL13ReductionType3EEvPKT_10TensorInfoIllEPS1_iiii,"axG",@progbits,_Z14scatter_kernelIdL13ReductionType3EEvPKT_10TensorInfoIllEPS1_iiii,comdat
	.protected	_Z14scatter_kernelIdL13ReductionType3EEvPKT_10TensorInfoIllEPS1_iiii ; -- Begin function _Z14scatter_kernelIdL13ReductionType3EEvPKT_10TensorInfoIllEPS1_iiii
	.globl	_Z14scatter_kernelIdL13ReductionType3EEvPKT_10TensorInfoIllEPS1_iiii
	.p2align	8
	.type	_Z14scatter_kernelIdL13ReductionType3EEvPKT_10TensorInfoIllEPS1_iiii,@function
_Z14scatter_kernelIdL13ReductionType3EEvPKT_10TensorInfoIllEPS1_iiii: ; @_Z14scatter_kernelIdL13ReductionType3EEvPKT_10TensorInfoIllEPS1_iiii
; %bb.0:
	s_load_dword s0, s[4:5], 0x1cc
	s_load_dwordx4 s[8:11], s[4:5], 0x1b0
	s_waitcnt lgkmcnt(0)
	s_and_b32 s0, s0, 0xffff
	s_mul_i32 s6, s6, s0
	v_add_u32_e32 v0, s6, v0
	v_cmp_gt_i32_e32 vcc, s11, v0
	s_and_saveexec_b64 s[0:1], vcc
	s_cbranch_execz .LBB18_12
; %bb.1:
	s_add_u32 s2, s4, 8
	s_addc_u32 s3, s5, 0
	s_abs_i32 s11, s9
	s_mul_i32 s20, s9, s8
	v_cvt_f32_u32_e32 v1, s11
	s_abs_i32 s8, s20
	v_cvt_f32_u32_e32 v2, s8
	s_sub_i32 s0, 0, s11
	v_rcp_iflag_f32_e32 v1, v1
	v_sub_u32_e32 v5, 0, v0
	v_rcp_iflag_f32_e32 v2, v2
	v_max_i32_e32 v12, v0, v5
	v_mul_f32_e32 v1, 0x4f7ffffe, v1
	v_cvt_u32_f32_e32 v1, v1
	v_mul_f32_e32 v2, 0x4f7ffffe, v2
	v_cvt_u32_f32_e32 v4, v2
	s_mov_b32 s1, 0
	v_mul_lo_u32 v2, s0, v1
	s_sub_i32 s0, 0, s8
	v_mul_lo_u32 v3, s0, v4
	s_load_dword s0, s[4:5], 0x1a0
	v_mul_hi_u32 v2, v1, v2
	v_mul_hi_u32 v5, v4, v3
	v_add_u32_e32 v1, v1, v2
	v_mad_u64_u32 v[2:3], s[6:7], v12, v1, 0
	v_add_u32_e32 v1, v4, v5
	v_mad_u64_u32 v[1:2], s[6:7], v12, v1, 0
	v_mov_b32_e32 v4, 0
	s_waitcnt lgkmcnt(0)
	s_cmp_lt_i32 s0, 2
	v_ashrrev_i32_e32 v1, 31, v0
	v_mov_b32_e32 v5, 0
	s_cbranch_scc1 .LBB18_9
; %bb.2:
	s_add_i32 s21, s0, 1
	s_add_i32 s0, s0, -1
	s_lshl_b64 s[0:1], s[0:1], 3
	s_add_u32 s0, s2, s0
	s_addc_u32 s1, s3, s1
	s_add_u32 s6, s0, 8
	v_mov_b32_e32 v4, 0
	v_mov_b32_e32 v9, v1
	s_addc_u32 s7, s1, 0
	v_mov_b32_e32 v5, 0
	v_mov_b32_e32 v6, 0
	;; [unrolled: 1-line block ×3, first 2 shown]
.LBB18_3:                               ; =>This Inner Loop Header: Depth=1
	s_load_dwordx2 s[12:13], s[6:7], 0x0
                                        ; implicit-def: $vgpr10_vgpr11
	s_waitcnt lgkmcnt(0)
	v_or_b32_e32 v7, s13, v9
	v_cmp_ne_u64_e32 vcc, 0, v[6:7]
	s_and_saveexec_b64 s[0:1], vcc
	s_xor_b64 s[14:15], exec, s[0:1]
	s_cbranch_execz .LBB18_5
; %bb.4:                                ;   in Loop: Header=BB18_3 Depth=1
	s_ashr_i32 s16, s13, 31
	s_add_u32 s0, s12, s16
	s_mov_b32 s17, s16
	s_addc_u32 s1, s13, s16
	s_xor_b64 s[18:19], s[0:1], s[16:17]
	v_cvt_f32_u32_e32 v7, s18
	v_cvt_f32_u32_e32 v10, s19
	s_sub_u32 s17, 0, s18
	s_subb_u32 s22, 0, s19
	v_mac_f32_e32 v7, 0x4f800000, v10
	v_rcp_f32_e32 v7, v7
	v_mul_f32_e32 v7, 0x5f7ffffc, v7
	v_mul_f32_e32 v10, 0x2f800000, v7
	v_trunc_f32_e32 v10, v10
	v_mac_f32_e32 v7, 0xcf800000, v10
	v_cvt_u32_f32_e32 v10, v10
	v_cvt_u32_f32_e32 v7, v7
	v_readfirstlane_b32 s23, v10
	v_readfirstlane_b32 s0, v7
	s_mul_i32 s1, s17, s23
	s_mul_hi_u32 s25, s17, s0
	s_mul_i32 s24, s22, s0
	s_add_i32 s1, s25, s1
	s_add_i32 s1, s1, s24
	s_mul_i32 s26, s17, s0
	s_mul_i32 s25, s0, s1
	s_mul_hi_u32 s27, s0, s26
	s_mul_hi_u32 s24, s0, s1
	s_add_u32 s25, s27, s25
	s_addc_u32 s24, 0, s24
	s_mul_hi_u32 s28, s23, s26
	s_mul_i32 s26, s23, s26
	s_add_u32 s25, s25, s26
	s_mul_hi_u32 s27, s23, s1
	s_addc_u32 s24, s24, s28
	s_addc_u32 s25, s27, 0
	s_mul_i32 s1, s23, s1
	s_add_u32 s1, s24, s1
	s_addc_u32 s24, 0, s25
	s_add_u32 s25, s0, s1
	s_cselect_b64 s[0:1], -1, 0
	s_cmp_lg_u64 s[0:1], 0
	s_addc_u32 s23, s23, s24
	s_mul_i32 s0, s17, s23
	s_mul_hi_u32 s1, s17, s25
	s_add_i32 s0, s1, s0
	s_mul_i32 s22, s22, s25
	s_add_i32 s0, s0, s22
	s_mul_i32 s17, s17, s25
	s_mul_hi_u32 s22, s23, s17
	s_mul_i32 s24, s23, s17
	s_mul_i32 s27, s25, s0
	s_mul_hi_u32 s17, s25, s17
	s_mul_hi_u32 s26, s25, s0
	s_add_u32 s17, s17, s27
	s_addc_u32 s26, 0, s26
	s_add_u32 s17, s17, s24
	s_mul_hi_u32 s1, s23, s0
	s_addc_u32 s17, s26, s22
	s_addc_u32 s1, s1, 0
	s_mul_i32 s0, s23, s0
	s_add_u32 s0, s17, s0
	s_addc_u32 s17, 0, s1
	s_add_u32 s22, s25, s0
	s_cselect_b64 s[0:1], -1, 0
	v_ashrrev_i32_e32 v7, 31, v9
	s_cmp_lg_u64 s[0:1], 0
	v_add_co_u32_e32 v10, vcc, v8, v7
	s_addc_u32 s17, s23, s17
	v_xor_b32_e32 v15, v10, v7
	v_mad_u64_u32 v[10:11], s[0:1], v15, s17, 0
	v_mul_hi_u32 v14, v15, s22
	v_addc_co_u32_e32 v13, vcc, v9, v7, vcc
	v_xor_b32_e32 v16, v13, v7
	v_add_co_u32_e32 v17, vcc, v14, v10
	v_addc_co_u32_e32 v18, vcc, 0, v11, vcc
	v_mad_u64_u32 v[10:11], s[0:1], v16, s22, 0
	v_mad_u64_u32 v[13:14], s[0:1], v16, s17, 0
	v_add_co_u32_e32 v10, vcc, v17, v10
	v_addc_co_u32_e32 v10, vcc, v18, v11, vcc
	v_addc_co_u32_e32 v11, vcc, 0, v14, vcc
	v_add_co_u32_e32 v13, vcc, v10, v13
	v_addc_co_u32_e32 v14, vcc, 0, v11, vcc
	v_mul_lo_u32 v17, s19, v13
	v_mul_lo_u32 v18, s18, v14
	v_mad_u64_u32 v[10:11], s[0:1], s18, v13, 0
	v_xor_b32_e32 v7, s16, v7
	v_add3_u32 v11, v11, v18, v17
	v_sub_u32_e32 v17, v16, v11
	v_mov_b32_e32 v18, s19
	v_sub_co_u32_e32 v10, vcc, v15, v10
	v_subb_co_u32_e64 v15, s[0:1], v17, v18, vcc
	v_subrev_co_u32_e64 v17, s[0:1], s18, v10
	v_subbrev_co_u32_e64 v15, s[0:1], 0, v15, s[0:1]
	v_cmp_le_u32_e64 s[0:1], s19, v15
	v_cndmask_b32_e64 v18, 0, -1, s[0:1]
	v_cmp_le_u32_e64 s[0:1], s18, v17
	v_cndmask_b32_e64 v17, 0, -1, s[0:1]
	v_cmp_eq_u32_e64 s[0:1], s19, v15
	v_cndmask_b32_e64 v15, v18, v17, s[0:1]
	v_add_co_u32_e64 v17, s[0:1], 2, v13
	v_subb_co_u32_e32 v11, vcc, v16, v11, vcc
	v_addc_co_u32_e64 v18, s[0:1], 0, v14, s[0:1]
	v_cmp_le_u32_e32 vcc, s19, v11
	v_add_co_u32_e64 v19, s[0:1], 1, v13
	v_cndmask_b32_e64 v16, 0, -1, vcc
	v_cmp_le_u32_e32 vcc, s18, v10
	v_addc_co_u32_e64 v20, s[0:1], 0, v14, s[0:1]
	v_cndmask_b32_e64 v10, 0, -1, vcc
	v_cmp_eq_u32_e32 vcc, s19, v11
	v_cmp_ne_u32_e64 s[0:1], 0, v15
	v_cndmask_b32_e32 v10, v16, v10, vcc
	v_cndmask_b32_e64 v15, v20, v18, s[0:1]
	v_cmp_ne_u32_e32 vcc, 0, v10
	v_cndmask_b32_e64 v11, v19, v17, s[0:1]
	v_cndmask_b32_e32 v10, v14, v15, vcc
	v_cndmask_b32_e32 v11, v13, v11, vcc
	v_xor_b32_e32 v13, v10, v7
	v_xor_b32_e32 v10, v11, v7
	v_sub_co_u32_e32 v10, vcc, v10, v7
	v_subb_co_u32_e32 v11, vcc, v13, v7, vcc
.LBB18_5:                               ;   in Loop: Header=BB18_3 Depth=1
	s_andn2_saveexec_b64 s[0:1], s[14:15]
	s_cbranch_execz .LBB18_7
; %bb.6:                                ;   in Loop: Header=BB18_3 Depth=1
	v_cvt_f32_u32_e32 v7, s12
	s_sub_i32 s14, 0, s12
	v_rcp_iflag_f32_e32 v7, v7
	v_mul_f32_e32 v7, 0x4f7ffffe, v7
	v_cvt_u32_f32_e32 v7, v7
	v_mul_lo_u32 v10, s14, v7
	v_mul_hi_u32 v10, v7, v10
	v_add_u32_e32 v7, v7, v10
	v_mul_hi_u32 v7, v8, v7
	v_mul_lo_u32 v10, v7, s12
	v_add_u32_e32 v11, 1, v7
	v_sub_u32_e32 v10, v8, v10
	v_subrev_u32_e32 v13, s12, v10
	v_cmp_le_u32_e32 vcc, s12, v10
	v_cndmask_b32_e32 v10, v10, v13, vcc
	v_cndmask_b32_e32 v7, v7, v11, vcc
	v_add_u32_e32 v11, 1, v7
	v_cmp_le_u32_e32 vcc, s12, v10
	v_cndmask_b32_e32 v10, v7, v11, vcc
	v_mov_b32_e32 v11, v6
.LBB18_7:                               ;   in Loop: Header=BB18_3 Depth=1
	s_or_b64 exec, exec, s[0:1]
	v_mul_lo_u32 v7, v11, s12
	v_mul_lo_u32 v15, v10, s13
	v_mad_u64_u32 v[13:14], s[0:1], v10, s12, 0
	s_load_dwordx2 s[0:1], s[6:7], 0xc8
	s_add_i32 s21, s21, -1
	v_add3_u32 v7, v14, v15, v7
	v_sub_co_u32_e32 v8, vcc, v8, v13
	v_subb_co_u32_e32 v7, vcc, v9, v7, vcc
	s_waitcnt lgkmcnt(0)
	v_mul_lo_u32 v7, s0, v7
	v_mul_lo_u32 v9, s1, v8
	v_mad_u64_u32 v[4:5], s[0:1], s0, v8, v[4:5]
	s_add_u32 s6, s6, -8
	s_addc_u32 s7, s7, -1
	s_cmp_gt_u32 s21, 2
	v_add3_u32 v5, v9, v5, v7
	s_cbranch_scc0 .LBB18_10
; %bb.8:                                ;   in Loop: Header=BB18_3 Depth=1
	v_mov_b32_e32 v8, v10
	v_mov_b32_e32 v9, v11
	s_branch .LBB18_3
.LBB18_9:
	v_mov_b32_e32 v11, v1
	v_mov_b32_e32 v10, v0
.LBB18_10:
	s_load_dwordx2 s[6:7], s[4:5], 0x1a8
	s_load_dword s1, s[2:3], 0xd0
	s_load_dwordx2 s[12:13], s[2:3], 0x0
	v_mul_lo_u32 v3, v3, s11
	v_mul_lo_u32 v8, v2, s8
	s_ashr_i32 s0, s20, 31
	s_waitcnt lgkmcnt(0)
	v_mad_u64_u32 v[4:5], s[2:3], s1, v10, v[4:5]
	v_mov_b32_e32 v5, 0
	v_mov_b32_e32 v7, s13
	v_mov_b32_e32 v6, v4
	v_ashrrev_i64 v[4:5], 29, v[5:6]
	s_load_dwordx2 s[2:3], s[4:5], 0x0
	v_add_co_u32_e32 v4, vcc, s12, v4
	v_addc_co_u32_e32 v5, vcc, v7, v5, vcc
	global_load_dwordx2 v[4:5], v[4:5], off
	v_lshlrev_b64 v[6:7], 3, v[0:1]
	v_sub_u32_e32 v0, v12, v3
	v_sub_u32_e32 v3, v12, v8
	v_add_u32_e32 v9, 1, v2
	v_cmp_le_u32_e32 vcc, s8, v3
	v_xor_b32_e32 v10, s0, v1
	v_subrev_u32_e32 v8, s11, v0
	v_cndmask_b32_e32 v2, v2, v9, vcc
	v_subrev_u32_e32 v9, s8, v3
	v_cmp_le_u32_e64 s[0:1], s11, v0
	s_waitcnt lgkmcnt(0)
	v_mov_b32_e32 v12, s3
	v_cndmask_b32_e64 v0, v0, v8, s[0:1]
	v_cndmask_b32_e32 v3, v3, v9, vcc
	v_add_co_u32_e32 v8, vcc, s2, v6
	v_addc_co_u32_e32 v9, vcc, v12, v7, vcc
	v_add_u32_e32 v13, 1, v2
	v_cmp_le_u32_e32 vcc, s8, v3
	v_subrev_u32_e32 v6, s11, v0
	v_cndmask_b32_e32 v2, v2, v13, vcc
	v_cmp_le_u32_e32 vcc, s11, v0
	v_cndmask_b32_e32 v0, v0, v6, vcc
	v_xor_b32_e32 v2, v2, v10
	s_mul_i32 s4, s10, s9
	v_xor_b32_e32 v3, v0, v1
	v_sub_u32_e32 v0, v2, v10
	v_mul_lo_u32 v0, s4, v0
	s_ashr_i32 s5, s9, 31
	v_sub_u32_e32 v1, v3, v1
	v_ashrrev_i32_e32 v2, 31, v1
	v_lshlrev_b64 v[2:3], 3, v[1:2]
	v_ashrrev_i32_e32 v1, 31, v0
	v_lshlrev_b64 v[0:1], 3, v[0:1]
	v_mov_b32_e32 v11, s7
	v_add_co_u32_e32 v10, vcc, s6, v0
	v_addc_co_u32_e32 v11, vcc, v11, v1, vcc
	s_waitcnt vmcnt(0)
	v_mul_lo_u32 v6, v4, s5
	v_mul_lo_u32 v7, v5, s9
	v_mad_u64_u32 v[4:5], s[0:1], v4, s9, 0
	s_mov_b64 s[0:1], 0
	v_add3_u32 v5, v5, v6, v7
	v_lshlrev_b64 v[0:1], 3, v[4:5]
	v_add_co_u32_e32 v0, vcc, v10, v0
	v_addc_co_u32_e32 v1, vcc, v11, v1, vcc
	v_add_co_u32_e32 v4, vcc, v0, v2
	v_addc_co_u32_e32 v5, vcc, v1, v3, vcc
	global_load_dwordx2 v[6:7], v[8:9], off
	global_load_dwordx2 v[2:3], v[4:5], off glc
.LBB18_11:                              ; =>This Inner Loop Header: Depth=1
	s_waitcnt vmcnt(1)
	v_max_f64 v[0:1], v[6:7], v[6:7]
	s_waitcnt vmcnt(0)
	v_max_f64 v[8:9], v[2:3], v[2:3]
	v_min_f64 v[0:1], v[8:9], v[0:1]
	global_atomic_cmpswap_x2 v[0:1], v[4:5], v[0:3], off glc
	s_waitcnt vmcnt(0)
	v_cmp_eq_u64_e32 vcc, v[2:3], v[0:1]
	v_mov_b32_e32 v3, v1
	s_or_b64 s[0:1], vcc, s[0:1]
	v_mov_b32_e32 v2, v0
	s_andn2_b64 exec, exec, s[0:1]
	s_cbranch_execnz .LBB18_11
.LBB18_12:
	s_endpgm
	.section	.rodata,"a",@progbits
	.p2align	6, 0x0
	.amdhsa_kernel _Z14scatter_kernelIdL13ReductionType3EEvPKT_10TensorInfoIllEPS1_iiii
		.amdhsa_group_segment_fixed_size 0
		.amdhsa_private_segment_fixed_size 0
		.amdhsa_kernarg_size 704
		.amdhsa_user_sgpr_count 6
		.amdhsa_user_sgpr_private_segment_buffer 1
		.amdhsa_user_sgpr_dispatch_ptr 0
		.amdhsa_user_sgpr_queue_ptr 0
		.amdhsa_user_sgpr_kernarg_segment_ptr 1
		.amdhsa_user_sgpr_dispatch_id 0
		.amdhsa_user_sgpr_flat_scratch_init 0
		.amdhsa_user_sgpr_private_segment_size 0
		.amdhsa_uses_dynamic_stack 0
		.amdhsa_system_sgpr_private_segment_wavefront_offset 0
		.amdhsa_system_sgpr_workgroup_id_x 1
		.amdhsa_system_sgpr_workgroup_id_y 0
		.amdhsa_system_sgpr_workgroup_id_z 0
		.amdhsa_system_sgpr_workgroup_info 0
		.amdhsa_system_vgpr_workitem_id 0
		.amdhsa_next_free_vgpr 21
		.amdhsa_next_free_sgpr 29
		.amdhsa_reserve_vcc 1
		.amdhsa_reserve_flat_scratch 0
		.amdhsa_float_round_mode_32 0
		.amdhsa_float_round_mode_16_64 0
		.amdhsa_float_denorm_mode_32 3
		.amdhsa_float_denorm_mode_16_64 3
		.amdhsa_dx10_clamp 1
		.amdhsa_ieee_mode 1
		.amdhsa_fp16_overflow 0
		.amdhsa_exception_fp_ieee_invalid_op 0
		.amdhsa_exception_fp_denorm_src 0
		.amdhsa_exception_fp_ieee_div_zero 0
		.amdhsa_exception_fp_ieee_overflow 0
		.amdhsa_exception_fp_ieee_underflow 0
		.amdhsa_exception_fp_ieee_inexact 0
		.amdhsa_exception_int_div_zero 0
	.end_amdhsa_kernel
	.section	.text._Z14scatter_kernelIdL13ReductionType3EEvPKT_10TensorInfoIllEPS1_iiii,"axG",@progbits,_Z14scatter_kernelIdL13ReductionType3EEvPKT_10TensorInfoIllEPS1_iiii,comdat
.Lfunc_end18:
	.size	_Z14scatter_kernelIdL13ReductionType3EEvPKT_10TensorInfoIllEPS1_iiii, .Lfunc_end18-_Z14scatter_kernelIdL13ReductionType3EEvPKT_10TensorInfoIllEPS1_iiii
                                        ; -- End function
	.set _Z14scatter_kernelIdL13ReductionType3EEvPKT_10TensorInfoIllEPS1_iiii.num_vgpr, 21
	.set _Z14scatter_kernelIdL13ReductionType3EEvPKT_10TensorInfoIllEPS1_iiii.num_agpr, 0
	.set _Z14scatter_kernelIdL13ReductionType3EEvPKT_10TensorInfoIllEPS1_iiii.numbered_sgpr, 29
	.set _Z14scatter_kernelIdL13ReductionType3EEvPKT_10TensorInfoIllEPS1_iiii.num_named_barrier, 0
	.set _Z14scatter_kernelIdL13ReductionType3EEvPKT_10TensorInfoIllEPS1_iiii.private_seg_size, 0
	.set _Z14scatter_kernelIdL13ReductionType3EEvPKT_10TensorInfoIllEPS1_iiii.uses_vcc, 1
	.set _Z14scatter_kernelIdL13ReductionType3EEvPKT_10TensorInfoIllEPS1_iiii.uses_flat_scratch, 0
	.set _Z14scatter_kernelIdL13ReductionType3EEvPKT_10TensorInfoIllEPS1_iiii.has_dyn_sized_stack, 0
	.set _Z14scatter_kernelIdL13ReductionType3EEvPKT_10TensorInfoIllEPS1_iiii.has_recursion, 0
	.set _Z14scatter_kernelIdL13ReductionType3EEvPKT_10TensorInfoIllEPS1_iiii.has_indirect_call, 0
	.section	.AMDGPU.csdata,"",@progbits
; Kernel info:
; codeLenInByte = 1556
; TotalNumSgprs: 33
; NumVgprs: 21
; ScratchSize: 0
; MemoryBound: 0
; FloatMode: 240
; IeeeMode: 1
; LDSByteSize: 0 bytes/workgroup (compile time only)
; SGPRBlocks: 4
; VGPRBlocks: 5
; NumSGPRsForWavesPerEU: 33
; NumVGPRsForWavesPerEU: 21
; Occupancy: 10
; WaveLimiterHint : 1
; COMPUTE_PGM_RSRC2:SCRATCH_EN: 0
; COMPUTE_PGM_RSRC2:USER_SGPR: 6
; COMPUTE_PGM_RSRC2:TRAP_HANDLER: 0
; COMPUTE_PGM_RSRC2:TGID_X_EN: 1
; COMPUTE_PGM_RSRC2:TGID_Y_EN: 0
; COMPUTE_PGM_RSRC2:TGID_Z_EN: 0
; COMPUTE_PGM_RSRC2:TIDIG_COMP_CNT: 0
	.section	.text._Z14scatter_kernelIdL13ReductionType4EEvPKT_10TensorInfoIllEPS1_iiii,"axG",@progbits,_Z14scatter_kernelIdL13ReductionType4EEvPKT_10TensorInfoIllEPS1_iiii,comdat
	.protected	_Z14scatter_kernelIdL13ReductionType4EEvPKT_10TensorInfoIllEPS1_iiii ; -- Begin function _Z14scatter_kernelIdL13ReductionType4EEvPKT_10TensorInfoIllEPS1_iiii
	.globl	_Z14scatter_kernelIdL13ReductionType4EEvPKT_10TensorInfoIllEPS1_iiii
	.p2align	8
	.type	_Z14scatter_kernelIdL13ReductionType4EEvPKT_10TensorInfoIllEPS1_iiii,@function
_Z14scatter_kernelIdL13ReductionType4EEvPKT_10TensorInfoIllEPS1_iiii: ; @_Z14scatter_kernelIdL13ReductionType4EEvPKT_10TensorInfoIllEPS1_iiii
; %bb.0:
	s_load_dword s0, s[4:5], 0x1cc
	s_load_dwordx4 s[8:11], s[4:5], 0x1b0
	s_waitcnt lgkmcnt(0)
	s_and_b32 s0, s0, 0xffff
	s_mul_i32 s6, s6, s0
	v_add_u32_e32 v0, s6, v0
	v_cmp_gt_i32_e32 vcc, s11, v0
	s_and_saveexec_b64 s[0:1], vcc
	s_cbranch_execz .LBB19_12
; %bb.1:
	s_add_u32 s2, s4, 8
	s_addc_u32 s3, s5, 0
	s_abs_i32 s11, s9
	s_mul_i32 s20, s9, s8
	v_cvt_f32_u32_e32 v1, s11
	s_abs_i32 s8, s20
	v_cvt_f32_u32_e32 v2, s8
	s_sub_i32 s0, 0, s11
	v_rcp_iflag_f32_e32 v1, v1
	v_sub_u32_e32 v5, 0, v0
	v_rcp_iflag_f32_e32 v2, v2
	v_max_i32_e32 v12, v0, v5
	v_mul_f32_e32 v1, 0x4f7ffffe, v1
	v_cvt_u32_f32_e32 v1, v1
	v_mul_f32_e32 v2, 0x4f7ffffe, v2
	v_cvt_u32_f32_e32 v4, v2
	s_mov_b32 s1, 0
	v_mul_lo_u32 v2, s0, v1
	s_sub_i32 s0, 0, s8
	v_mul_lo_u32 v3, s0, v4
	s_load_dword s0, s[4:5], 0x1a0
	v_mul_hi_u32 v2, v1, v2
	v_mul_hi_u32 v5, v4, v3
	v_add_u32_e32 v1, v1, v2
	v_mad_u64_u32 v[2:3], s[6:7], v12, v1, 0
	v_add_u32_e32 v1, v4, v5
	v_mad_u64_u32 v[1:2], s[6:7], v12, v1, 0
	v_mov_b32_e32 v4, 0
	s_waitcnt lgkmcnt(0)
	s_cmp_lt_i32 s0, 2
	v_ashrrev_i32_e32 v1, 31, v0
	v_mov_b32_e32 v5, 0
	s_cbranch_scc1 .LBB19_9
; %bb.2:
	s_add_i32 s21, s0, 1
	s_add_i32 s0, s0, -1
	s_lshl_b64 s[0:1], s[0:1], 3
	s_add_u32 s0, s2, s0
	s_addc_u32 s1, s3, s1
	s_add_u32 s6, s0, 8
	v_mov_b32_e32 v4, 0
	v_mov_b32_e32 v9, v1
	s_addc_u32 s7, s1, 0
	v_mov_b32_e32 v5, 0
	v_mov_b32_e32 v6, 0
	v_mov_b32_e32 v8, v0
.LBB19_3:                               ; =>This Inner Loop Header: Depth=1
	s_load_dwordx2 s[12:13], s[6:7], 0x0
                                        ; implicit-def: $vgpr10_vgpr11
	s_waitcnt lgkmcnt(0)
	v_or_b32_e32 v7, s13, v9
	v_cmp_ne_u64_e32 vcc, 0, v[6:7]
	s_and_saveexec_b64 s[0:1], vcc
	s_xor_b64 s[14:15], exec, s[0:1]
	s_cbranch_execz .LBB19_5
; %bb.4:                                ;   in Loop: Header=BB19_3 Depth=1
	s_ashr_i32 s16, s13, 31
	s_add_u32 s0, s12, s16
	s_mov_b32 s17, s16
	s_addc_u32 s1, s13, s16
	s_xor_b64 s[18:19], s[0:1], s[16:17]
	v_cvt_f32_u32_e32 v7, s18
	v_cvt_f32_u32_e32 v10, s19
	s_sub_u32 s17, 0, s18
	s_subb_u32 s22, 0, s19
	v_mac_f32_e32 v7, 0x4f800000, v10
	v_rcp_f32_e32 v7, v7
	v_mul_f32_e32 v7, 0x5f7ffffc, v7
	v_mul_f32_e32 v10, 0x2f800000, v7
	v_trunc_f32_e32 v10, v10
	v_mac_f32_e32 v7, 0xcf800000, v10
	v_cvt_u32_f32_e32 v10, v10
	v_cvt_u32_f32_e32 v7, v7
	v_readfirstlane_b32 s23, v10
	v_readfirstlane_b32 s0, v7
	s_mul_i32 s1, s17, s23
	s_mul_hi_u32 s25, s17, s0
	s_mul_i32 s24, s22, s0
	s_add_i32 s1, s25, s1
	s_add_i32 s1, s1, s24
	s_mul_i32 s26, s17, s0
	s_mul_i32 s25, s0, s1
	s_mul_hi_u32 s27, s0, s26
	s_mul_hi_u32 s24, s0, s1
	s_add_u32 s25, s27, s25
	s_addc_u32 s24, 0, s24
	s_mul_hi_u32 s28, s23, s26
	s_mul_i32 s26, s23, s26
	s_add_u32 s25, s25, s26
	s_mul_hi_u32 s27, s23, s1
	s_addc_u32 s24, s24, s28
	s_addc_u32 s25, s27, 0
	s_mul_i32 s1, s23, s1
	s_add_u32 s1, s24, s1
	s_addc_u32 s24, 0, s25
	s_add_u32 s25, s0, s1
	s_cselect_b64 s[0:1], -1, 0
	s_cmp_lg_u64 s[0:1], 0
	s_addc_u32 s23, s23, s24
	s_mul_i32 s0, s17, s23
	s_mul_hi_u32 s1, s17, s25
	s_add_i32 s0, s1, s0
	s_mul_i32 s22, s22, s25
	s_add_i32 s0, s0, s22
	s_mul_i32 s17, s17, s25
	s_mul_hi_u32 s22, s23, s17
	s_mul_i32 s24, s23, s17
	s_mul_i32 s27, s25, s0
	s_mul_hi_u32 s17, s25, s17
	s_mul_hi_u32 s26, s25, s0
	s_add_u32 s17, s17, s27
	s_addc_u32 s26, 0, s26
	s_add_u32 s17, s17, s24
	s_mul_hi_u32 s1, s23, s0
	s_addc_u32 s17, s26, s22
	s_addc_u32 s1, s1, 0
	s_mul_i32 s0, s23, s0
	s_add_u32 s0, s17, s0
	s_addc_u32 s17, 0, s1
	s_add_u32 s22, s25, s0
	s_cselect_b64 s[0:1], -1, 0
	v_ashrrev_i32_e32 v7, 31, v9
	s_cmp_lg_u64 s[0:1], 0
	v_add_co_u32_e32 v10, vcc, v8, v7
	s_addc_u32 s17, s23, s17
	v_xor_b32_e32 v15, v10, v7
	v_mad_u64_u32 v[10:11], s[0:1], v15, s17, 0
	v_mul_hi_u32 v14, v15, s22
	v_addc_co_u32_e32 v13, vcc, v9, v7, vcc
	v_xor_b32_e32 v16, v13, v7
	v_add_co_u32_e32 v17, vcc, v14, v10
	v_addc_co_u32_e32 v18, vcc, 0, v11, vcc
	v_mad_u64_u32 v[10:11], s[0:1], v16, s22, 0
	v_mad_u64_u32 v[13:14], s[0:1], v16, s17, 0
	v_add_co_u32_e32 v10, vcc, v17, v10
	v_addc_co_u32_e32 v10, vcc, v18, v11, vcc
	v_addc_co_u32_e32 v11, vcc, 0, v14, vcc
	v_add_co_u32_e32 v13, vcc, v10, v13
	v_addc_co_u32_e32 v14, vcc, 0, v11, vcc
	v_mul_lo_u32 v17, s19, v13
	v_mul_lo_u32 v18, s18, v14
	v_mad_u64_u32 v[10:11], s[0:1], s18, v13, 0
	v_xor_b32_e32 v7, s16, v7
	v_add3_u32 v11, v11, v18, v17
	v_sub_u32_e32 v17, v16, v11
	v_mov_b32_e32 v18, s19
	v_sub_co_u32_e32 v10, vcc, v15, v10
	v_subb_co_u32_e64 v15, s[0:1], v17, v18, vcc
	v_subrev_co_u32_e64 v17, s[0:1], s18, v10
	v_subbrev_co_u32_e64 v15, s[0:1], 0, v15, s[0:1]
	v_cmp_le_u32_e64 s[0:1], s19, v15
	v_cndmask_b32_e64 v18, 0, -1, s[0:1]
	v_cmp_le_u32_e64 s[0:1], s18, v17
	v_cndmask_b32_e64 v17, 0, -1, s[0:1]
	v_cmp_eq_u32_e64 s[0:1], s19, v15
	v_cndmask_b32_e64 v15, v18, v17, s[0:1]
	v_add_co_u32_e64 v17, s[0:1], 2, v13
	v_subb_co_u32_e32 v11, vcc, v16, v11, vcc
	v_addc_co_u32_e64 v18, s[0:1], 0, v14, s[0:1]
	v_cmp_le_u32_e32 vcc, s19, v11
	v_add_co_u32_e64 v19, s[0:1], 1, v13
	v_cndmask_b32_e64 v16, 0, -1, vcc
	v_cmp_le_u32_e32 vcc, s18, v10
	v_addc_co_u32_e64 v20, s[0:1], 0, v14, s[0:1]
	v_cndmask_b32_e64 v10, 0, -1, vcc
	v_cmp_eq_u32_e32 vcc, s19, v11
	v_cmp_ne_u32_e64 s[0:1], 0, v15
	v_cndmask_b32_e32 v10, v16, v10, vcc
	v_cndmask_b32_e64 v15, v20, v18, s[0:1]
	v_cmp_ne_u32_e32 vcc, 0, v10
	v_cndmask_b32_e64 v11, v19, v17, s[0:1]
	v_cndmask_b32_e32 v10, v14, v15, vcc
	v_cndmask_b32_e32 v11, v13, v11, vcc
	v_xor_b32_e32 v13, v10, v7
	v_xor_b32_e32 v10, v11, v7
	v_sub_co_u32_e32 v10, vcc, v10, v7
	v_subb_co_u32_e32 v11, vcc, v13, v7, vcc
.LBB19_5:                               ;   in Loop: Header=BB19_3 Depth=1
	s_andn2_saveexec_b64 s[0:1], s[14:15]
	s_cbranch_execz .LBB19_7
; %bb.6:                                ;   in Loop: Header=BB19_3 Depth=1
	v_cvt_f32_u32_e32 v7, s12
	s_sub_i32 s14, 0, s12
	v_rcp_iflag_f32_e32 v7, v7
	v_mul_f32_e32 v7, 0x4f7ffffe, v7
	v_cvt_u32_f32_e32 v7, v7
	v_mul_lo_u32 v10, s14, v7
	v_mul_hi_u32 v10, v7, v10
	v_add_u32_e32 v7, v7, v10
	v_mul_hi_u32 v7, v8, v7
	v_mul_lo_u32 v10, v7, s12
	v_add_u32_e32 v11, 1, v7
	v_sub_u32_e32 v10, v8, v10
	v_subrev_u32_e32 v13, s12, v10
	v_cmp_le_u32_e32 vcc, s12, v10
	v_cndmask_b32_e32 v10, v10, v13, vcc
	v_cndmask_b32_e32 v7, v7, v11, vcc
	v_add_u32_e32 v11, 1, v7
	v_cmp_le_u32_e32 vcc, s12, v10
	v_cndmask_b32_e32 v10, v7, v11, vcc
	v_mov_b32_e32 v11, v6
.LBB19_7:                               ;   in Loop: Header=BB19_3 Depth=1
	s_or_b64 exec, exec, s[0:1]
	v_mul_lo_u32 v7, v11, s12
	v_mul_lo_u32 v15, v10, s13
	v_mad_u64_u32 v[13:14], s[0:1], v10, s12, 0
	s_load_dwordx2 s[0:1], s[6:7], 0xc8
	s_add_i32 s21, s21, -1
	v_add3_u32 v7, v14, v15, v7
	v_sub_co_u32_e32 v8, vcc, v8, v13
	v_subb_co_u32_e32 v7, vcc, v9, v7, vcc
	s_waitcnt lgkmcnt(0)
	v_mul_lo_u32 v7, s0, v7
	v_mul_lo_u32 v9, s1, v8
	v_mad_u64_u32 v[4:5], s[0:1], s0, v8, v[4:5]
	s_add_u32 s6, s6, -8
	s_addc_u32 s7, s7, -1
	s_cmp_gt_u32 s21, 2
	v_add3_u32 v5, v9, v5, v7
	s_cbranch_scc0 .LBB19_10
; %bb.8:                                ;   in Loop: Header=BB19_3 Depth=1
	v_mov_b32_e32 v8, v10
	v_mov_b32_e32 v9, v11
	s_branch .LBB19_3
.LBB19_9:
	v_mov_b32_e32 v11, v1
	v_mov_b32_e32 v10, v0
.LBB19_10:
	s_load_dwordx2 s[6:7], s[4:5], 0x1a8
	s_load_dword s1, s[2:3], 0xd0
	s_load_dwordx2 s[12:13], s[2:3], 0x0
	v_mul_lo_u32 v3, v3, s11
	v_mul_lo_u32 v8, v2, s8
	s_ashr_i32 s0, s20, 31
	s_waitcnt lgkmcnt(0)
	v_mad_u64_u32 v[4:5], s[2:3], s1, v10, v[4:5]
	v_mov_b32_e32 v5, 0
	v_mov_b32_e32 v7, s13
	;; [unrolled: 1-line block ×3, first 2 shown]
	v_ashrrev_i64 v[4:5], 29, v[5:6]
	s_load_dwordx2 s[2:3], s[4:5], 0x0
	v_add_co_u32_e32 v4, vcc, s12, v4
	v_addc_co_u32_e32 v5, vcc, v7, v5, vcc
	global_load_dwordx2 v[4:5], v[4:5], off
	v_lshlrev_b64 v[6:7], 3, v[0:1]
	v_sub_u32_e32 v0, v12, v3
	v_sub_u32_e32 v3, v12, v8
	v_add_u32_e32 v9, 1, v2
	v_cmp_le_u32_e32 vcc, s8, v3
	v_xor_b32_e32 v10, s0, v1
	v_subrev_u32_e32 v8, s11, v0
	v_cndmask_b32_e32 v2, v2, v9, vcc
	v_subrev_u32_e32 v9, s8, v3
	v_cmp_le_u32_e64 s[0:1], s11, v0
	s_waitcnt lgkmcnt(0)
	v_mov_b32_e32 v12, s3
	v_cndmask_b32_e64 v0, v0, v8, s[0:1]
	v_cndmask_b32_e32 v3, v3, v9, vcc
	v_add_co_u32_e32 v8, vcc, s2, v6
	v_addc_co_u32_e32 v9, vcc, v12, v7, vcc
	v_add_u32_e32 v13, 1, v2
	v_cmp_le_u32_e32 vcc, s8, v3
	v_subrev_u32_e32 v6, s11, v0
	v_cndmask_b32_e32 v2, v2, v13, vcc
	v_cmp_le_u32_e32 vcc, s11, v0
	v_cndmask_b32_e32 v0, v0, v6, vcc
	v_xor_b32_e32 v2, v2, v10
	s_mul_i32 s4, s10, s9
	v_xor_b32_e32 v3, v0, v1
	v_sub_u32_e32 v0, v2, v10
	v_mul_lo_u32 v0, s4, v0
	s_ashr_i32 s5, s9, 31
	v_sub_u32_e32 v1, v3, v1
	v_ashrrev_i32_e32 v2, 31, v1
	v_lshlrev_b64 v[2:3], 3, v[1:2]
	v_ashrrev_i32_e32 v1, 31, v0
	v_lshlrev_b64 v[0:1], 3, v[0:1]
	v_mov_b32_e32 v11, s7
	v_add_co_u32_e32 v10, vcc, s6, v0
	v_addc_co_u32_e32 v11, vcc, v11, v1, vcc
	s_waitcnt vmcnt(0)
	v_mul_lo_u32 v6, v4, s5
	v_mul_lo_u32 v7, v5, s9
	v_mad_u64_u32 v[4:5], s[0:1], v4, s9, 0
	s_mov_b64 s[0:1], 0
	v_add3_u32 v5, v5, v6, v7
	v_lshlrev_b64 v[0:1], 3, v[4:5]
	v_add_co_u32_e32 v0, vcc, v10, v0
	v_addc_co_u32_e32 v1, vcc, v11, v1, vcc
	v_add_co_u32_e32 v4, vcc, v0, v2
	v_addc_co_u32_e32 v5, vcc, v1, v3, vcc
	global_load_dwordx2 v[6:7], v[8:9], off
	global_load_dwordx2 v[2:3], v[4:5], off glc
.LBB19_11:                              ; =>This Inner Loop Header: Depth=1
	s_waitcnt vmcnt(1)
	v_max_f64 v[0:1], v[6:7], v[6:7]
	s_waitcnt vmcnt(0)
	v_max_f64 v[8:9], v[2:3], v[2:3]
	v_max_f64 v[0:1], v[8:9], v[0:1]
	global_atomic_cmpswap_x2 v[0:1], v[4:5], v[0:3], off glc
	s_waitcnt vmcnt(0)
	v_cmp_eq_u64_e32 vcc, v[2:3], v[0:1]
	v_mov_b32_e32 v3, v1
	s_or_b64 s[0:1], vcc, s[0:1]
	v_mov_b32_e32 v2, v0
	s_andn2_b64 exec, exec, s[0:1]
	s_cbranch_execnz .LBB19_11
.LBB19_12:
	s_endpgm
	.section	.rodata,"a",@progbits
	.p2align	6, 0x0
	.amdhsa_kernel _Z14scatter_kernelIdL13ReductionType4EEvPKT_10TensorInfoIllEPS1_iiii
		.amdhsa_group_segment_fixed_size 0
		.amdhsa_private_segment_fixed_size 0
		.amdhsa_kernarg_size 704
		.amdhsa_user_sgpr_count 6
		.amdhsa_user_sgpr_private_segment_buffer 1
		.amdhsa_user_sgpr_dispatch_ptr 0
		.amdhsa_user_sgpr_queue_ptr 0
		.amdhsa_user_sgpr_kernarg_segment_ptr 1
		.amdhsa_user_sgpr_dispatch_id 0
		.amdhsa_user_sgpr_flat_scratch_init 0
		.amdhsa_user_sgpr_private_segment_size 0
		.amdhsa_uses_dynamic_stack 0
		.amdhsa_system_sgpr_private_segment_wavefront_offset 0
		.amdhsa_system_sgpr_workgroup_id_x 1
		.amdhsa_system_sgpr_workgroup_id_y 0
		.amdhsa_system_sgpr_workgroup_id_z 0
		.amdhsa_system_sgpr_workgroup_info 0
		.amdhsa_system_vgpr_workitem_id 0
		.amdhsa_next_free_vgpr 21
		.amdhsa_next_free_sgpr 29
		.amdhsa_reserve_vcc 1
		.amdhsa_reserve_flat_scratch 0
		.amdhsa_float_round_mode_32 0
		.amdhsa_float_round_mode_16_64 0
		.amdhsa_float_denorm_mode_32 3
		.amdhsa_float_denorm_mode_16_64 3
		.amdhsa_dx10_clamp 1
		.amdhsa_ieee_mode 1
		.amdhsa_fp16_overflow 0
		.amdhsa_exception_fp_ieee_invalid_op 0
		.amdhsa_exception_fp_denorm_src 0
		.amdhsa_exception_fp_ieee_div_zero 0
		.amdhsa_exception_fp_ieee_overflow 0
		.amdhsa_exception_fp_ieee_underflow 0
		.amdhsa_exception_fp_ieee_inexact 0
		.amdhsa_exception_int_div_zero 0
	.end_amdhsa_kernel
	.section	.text._Z14scatter_kernelIdL13ReductionType4EEvPKT_10TensorInfoIllEPS1_iiii,"axG",@progbits,_Z14scatter_kernelIdL13ReductionType4EEvPKT_10TensorInfoIllEPS1_iiii,comdat
.Lfunc_end19:
	.size	_Z14scatter_kernelIdL13ReductionType4EEvPKT_10TensorInfoIllEPS1_iiii, .Lfunc_end19-_Z14scatter_kernelIdL13ReductionType4EEvPKT_10TensorInfoIllEPS1_iiii
                                        ; -- End function
	.set _Z14scatter_kernelIdL13ReductionType4EEvPKT_10TensorInfoIllEPS1_iiii.num_vgpr, 21
	.set _Z14scatter_kernelIdL13ReductionType4EEvPKT_10TensorInfoIllEPS1_iiii.num_agpr, 0
	.set _Z14scatter_kernelIdL13ReductionType4EEvPKT_10TensorInfoIllEPS1_iiii.numbered_sgpr, 29
	.set _Z14scatter_kernelIdL13ReductionType4EEvPKT_10TensorInfoIllEPS1_iiii.num_named_barrier, 0
	.set _Z14scatter_kernelIdL13ReductionType4EEvPKT_10TensorInfoIllEPS1_iiii.private_seg_size, 0
	.set _Z14scatter_kernelIdL13ReductionType4EEvPKT_10TensorInfoIllEPS1_iiii.uses_vcc, 1
	.set _Z14scatter_kernelIdL13ReductionType4EEvPKT_10TensorInfoIllEPS1_iiii.uses_flat_scratch, 0
	.set _Z14scatter_kernelIdL13ReductionType4EEvPKT_10TensorInfoIllEPS1_iiii.has_dyn_sized_stack, 0
	.set _Z14scatter_kernelIdL13ReductionType4EEvPKT_10TensorInfoIllEPS1_iiii.has_recursion, 0
	.set _Z14scatter_kernelIdL13ReductionType4EEvPKT_10TensorInfoIllEPS1_iiii.has_indirect_call, 0
	.section	.AMDGPU.csdata,"",@progbits
; Kernel info:
; codeLenInByte = 1556
; TotalNumSgprs: 33
; NumVgprs: 21
; ScratchSize: 0
; MemoryBound: 0
; FloatMode: 240
; IeeeMode: 1
; LDSByteSize: 0 bytes/workgroup (compile time only)
; SGPRBlocks: 4
; VGPRBlocks: 5
; NumSGPRsForWavesPerEU: 33
; NumVGPRsForWavesPerEU: 21
; Occupancy: 10
; WaveLimiterHint : 1
; COMPUTE_PGM_RSRC2:SCRATCH_EN: 0
; COMPUTE_PGM_RSRC2:USER_SGPR: 6
; COMPUTE_PGM_RSRC2:TRAP_HANDLER: 0
; COMPUTE_PGM_RSRC2:TGID_X_EN: 1
; COMPUTE_PGM_RSRC2:TGID_Y_EN: 0
; COMPUTE_PGM_RSRC2:TGID_Z_EN: 0
; COMPUTE_PGM_RSRC2:TIDIG_COMP_CNT: 0
	.section	.AMDGPU.gpr_maximums,"",@progbits
	.set amdgpu.max_num_vgpr, 0
	.set amdgpu.max_num_agpr, 0
	.set amdgpu.max_num_sgpr, 0
	.section	.AMDGPU.csdata,"",@progbits
	.type	__hip_cuid_5c2b398e3b95c100,@object ; @__hip_cuid_5c2b398e3b95c100
	.section	.bss,"aw",@nobits
	.globl	__hip_cuid_5c2b398e3b95c100
__hip_cuid_5c2b398e3b95c100:
	.byte	0                               ; 0x0
	.size	__hip_cuid_5c2b398e3b95c100, 1

	.ident	"AMD clang version 22.0.0git (https://github.com/RadeonOpenCompute/llvm-project roc-7.2.4 26084 f58b06dce1f9c15707c5f808fd002e18c2accf7e)"
	.section	".note.GNU-stack","",@progbits
	.addrsig
	.addrsig_sym __hip_cuid_5c2b398e3b95c100
	.amdgpu_metadata
---
amdhsa.kernels:
  - .args:
      - .address_space:  global
        .offset:         0
        .size:           8
        .value_kind:     global_buffer
      - .offset:         8
        .size:           416
        .value_kind:     by_value
      - .address_space:  global
        .offset:         424
        .size:           8
        .value_kind:     global_buffer
      - .offset:         432
        .size:           4
        .value_kind:     by_value
      - .offset:         436
        .size:           4
        .value_kind:     by_value
      - .offset:         440
        .size:           4
        .value_kind:     by_value
      - .offset:         444
        .size:           4
        .value_kind:     by_value
      - .offset:         448
        .size:           4
        .value_kind:     hidden_block_count_x
      - .offset:         452
        .size:           4
        .value_kind:     hidden_block_count_y
      - .offset:         456
        .size:           4
        .value_kind:     hidden_block_count_z
      - .offset:         460
        .size:           2
        .value_kind:     hidden_group_size_x
      - .offset:         462
        .size:           2
        .value_kind:     hidden_group_size_y
      - .offset:         464
        .size:           2
        .value_kind:     hidden_group_size_z
      - .offset:         466
        .size:           2
        .value_kind:     hidden_remainder_x
      - .offset:         468
        .size:           2
        .value_kind:     hidden_remainder_y
      - .offset:         470
        .size:           2
        .value_kind:     hidden_remainder_z
      - .offset:         488
        .size:           8
        .value_kind:     hidden_global_offset_x
      - .offset:         496
        .size:           8
        .value_kind:     hidden_global_offset_y
      - .offset:         504
        .size:           8
        .value_kind:     hidden_global_offset_z
      - .offset:         512
        .size:           2
        .value_kind:     hidden_grid_dims
    .group_segment_fixed_size: 0
    .kernarg_segment_align: 8
    .kernarg_segment_size: 704
    .language:       OpenCL C
    .language_version:
      - 2
      - 0
    .max_flat_workgroup_size: 1024
    .name:           _Z14scatter_kernelIiL13ReductionType1EEvPKT_10TensorInfoIllEPS1_iiii
    .private_segment_fixed_size: 0
    .sgpr_count:     33
    .sgpr_spill_count: 0
    .symbol:         _Z14scatter_kernelIiL13ReductionType1EEvPKT_10TensorInfoIllEPS1_iiii.kd
    .uniform_work_group_size: 1
    .uses_dynamic_stack: false
    .vgpr_count:     21
    .vgpr_spill_count: 0
    .wavefront_size: 64
  - .args:
      - .address_space:  global
        .offset:         0
        .size:           8
        .value_kind:     global_buffer
      - .offset:         8
        .size:           416
        .value_kind:     by_value
      - .address_space:  global
        .offset:         424
        .size:           8
        .value_kind:     global_buffer
      - .offset:         432
        .size:           4
        .value_kind:     by_value
      - .offset:         436
        .size:           4
        .value_kind:     by_value
      - .offset:         440
        .size:           4
        .value_kind:     by_value
      - .offset:         444
        .size:           4
        .value_kind:     by_value
      - .offset:         448
        .size:           4
        .value_kind:     hidden_block_count_x
      - .offset:         452
        .size:           4
        .value_kind:     hidden_block_count_y
      - .offset:         456
        .size:           4
        .value_kind:     hidden_block_count_z
      - .offset:         460
        .size:           2
        .value_kind:     hidden_group_size_x
      - .offset:         462
        .size:           2
        .value_kind:     hidden_group_size_y
      - .offset:         464
        .size:           2
        .value_kind:     hidden_group_size_z
      - .offset:         466
        .size:           2
        .value_kind:     hidden_remainder_x
      - .offset:         468
        .size:           2
        .value_kind:     hidden_remainder_y
      - .offset:         470
        .size:           2
        .value_kind:     hidden_remainder_z
      - .offset:         488
        .size:           8
        .value_kind:     hidden_global_offset_x
      - .offset:         496
        .size:           8
        .value_kind:     hidden_global_offset_y
      - .offset:         504
        .size:           8
        .value_kind:     hidden_global_offset_z
      - .offset:         512
        .size:           2
        .value_kind:     hidden_grid_dims
    .group_segment_fixed_size: 0
    .kernarg_segment_align: 8
    .kernarg_segment_size: 704
    .language:       OpenCL C
    .language_version:
      - 2
      - 0
    .max_flat_workgroup_size: 1024
    .name:           _Z14scatter_kernelIiL13ReductionType2EEvPKT_10TensorInfoIllEPS1_iiii
    .private_segment_fixed_size: 0
    .sgpr_count:     33
    .sgpr_spill_count: 0
    .symbol:         _Z14scatter_kernelIiL13ReductionType2EEvPKT_10TensorInfoIllEPS1_iiii.kd
    .uniform_work_group_size: 1
    .uses_dynamic_stack: false
    .vgpr_count:     21
    .vgpr_spill_count: 0
    .wavefront_size: 64
  - .args:
      - .address_space:  global
        .offset:         0
        .size:           8
        .value_kind:     global_buffer
      - .offset:         8
        .size:           416
        .value_kind:     by_value
      - .address_space:  global
        .offset:         424
        .size:           8
        .value_kind:     global_buffer
      - .offset:         432
        .size:           4
        .value_kind:     by_value
      - .offset:         436
        .size:           4
        .value_kind:     by_value
      - .offset:         440
        .size:           4
        .value_kind:     by_value
      - .offset:         444
        .size:           4
        .value_kind:     by_value
      - .offset:         448
        .size:           4
        .value_kind:     hidden_block_count_x
      - .offset:         452
        .size:           4
        .value_kind:     hidden_block_count_y
      - .offset:         456
        .size:           4
        .value_kind:     hidden_block_count_z
      - .offset:         460
        .size:           2
        .value_kind:     hidden_group_size_x
      - .offset:         462
        .size:           2
        .value_kind:     hidden_group_size_y
      - .offset:         464
        .size:           2
        .value_kind:     hidden_group_size_z
      - .offset:         466
        .size:           2
        .value_kind:     hidden_remainder_x
      - .offset:         468
        .size:           2
        .value_kind:     hidden_remainder_y
      - .offset:         470
        .size:           2
        .value_kind:     hidden_remainder_z
      - .offset:         488
        .size:           8
        .value_kind:     hidden_global_offset_x
      - .offset:         496
        .size:           8
        .value_kind:     hidden_global_offset_y
      - .offset:         504
        .size:           8
        .value_kind:     hidden_global_offset_z
      - .offset:         512
        .size:           2
        .value_kind:     hidden_grid_dims
    .group_segment_fixed_size: 0
    .kernarg_segment_align: 8
    .kernarg_segment_size: 704
    .language:       OpenCL C
    .language_version:
      - 2
      - 0
    .max_flat_workgroup_size: 1024
    .name:           _Z14scatter_kernelIiL13ReductionType0EEvPKT_10TensorInfoIllEPS1_iiii
    .private_segment_fixed_size: 0
    .sgpr_count:     33
    .sgpr_spill_count: 0
    .symbol:         _Z14scatter_kernelIiL13ReductionType0EEvPKT_10TensorInfoIllEPS1_iiii.kd
    .uniform_work_group_size: 1
    .uses_dynamic_stack: false
    .vgpr_count:     21
    .vgpr_spill_count: 0
    .wavefront_size: 64
  - .args:
      - .address_space:  global
        .offset:         0
        .size:           8
        .value_kind:     global_buffer
      - .offset:         8
        .size:           416
        .value_kind:     by_value
      - .address_space:  global
        .offset:         424
        .size:           8
        .value_kind:     global_buffer
      - .offset:         432
        .size:           4
        .value_kind:     by_value
      - .offset:         436
        .size:           4
        .value_kind:     by_value
      - .offset:         440
        .size:           4
        .value_kind:     by_value
      - .offset:         444
        .size:           4
        .value_kind:     by_value
      - .offset:         448
        .size:           4
        .value_kind:     hidden_block_count_x
      - .offset:         452
        .size:           4
        .value_kind:     hidden_block_count_y
      - .offset:         456
        .size:           4
        .value_kind:     hidden_block_count_z
      - .offset:         460
        .size:           2
        .value_kind:     hidden_group_size_x
      - .offset:         462
        .size:           2
        .value_kind:     hidden_group_size_y
      - .offset:         464
        .size:           2
        .value_kind:     hidden_group_size_z
      - .offset:         466
        .size:           2
        .value_kind:     hidden_remainder_x
      - .offset:         468
        .size:           2
        .value_kind:     hidden_remainder_y
      - .offset:         470
        .size:           2
        .value_kind:     hidden_remainder_z
      - .offset:         488
        .size:           8
        .value_kind:     hidden_global_offset_x
      - .offset:         496
        .size:           8
        .value_kind:     hidden_global_offset_y
      - .offset:         504
        .size:           8
        .value_kind:     hidden_global_offset_z
      - .offset:         512
        .size:           2
        .value_kind:     hidden_grid_dims
    .group_segment_fixed_size: 0
    .kernarg_segment_align: 8
    .kernarg_segment_size: 704
    .language:       OpenCL C
    .language_version:
      - 2
      - 0
    .max_flat_workgroup_size: 1024
    .name:           _Z14scatter_kernelIiL13ReductionType3EEvPKT_10TensorInfoIllEPS1_iiii
    .private_segment_fixed_size: 0
    .sgpr_count:     33
    .sgpr_spill_count: 0
    .symbol:         _Z14scatter_kernelIiL13ReductionType3EEvPKT_10TensorInfoIllEPS1_iiii.kd
    .uniform_work_group_size: 1
    .uses_dynamic_stack: false
    .vgpr_count:     21
    .vgpr_spill_count: 0
    .wavefront_size: 64
  - .args:
      - .address_space:  global
        .offset:         0
        .size:           8
        .value_kind:     global_buffer
      - .offset:         8
        .size:           416
        .value_kind:     by_value
      - .address_space:  global
        .offset:         424
        .size:           8
        .value_kind:     global_buffer
      - .offset:         432
        .size:           4
        .value_kind:     by_value
      - .offset:         436
        .size:           4
        .value_kind:     by_value
      - .offset:         440
        .size:           4
        .value_kind:     by_value
      - .offset:         444
        .size:           4
        .value_kind:     by_value
      - .offset:         448
        .size:           4
        .value_kind:     hidden_block_count_x
      - .offset:         452
        .size:           4
        .value_kind:     hidden_block_count_y
      - .offset:         456
        .size:           4
        .value_kind:     hidden_block_count_z
      - .offset:         460
        .size:           2
        .value_kind:     hidden_group_size_x
      - .offset:         462
        .size:           2
        .value_kind:     hidden_group_size_y
      - .offset:         464
        .size:           2
        .value_kind:     hidden_group_size_z
      - .offset:         466
        .size:           2
        .value_kind:     hidden_remainder_x
      - .offset:         468
        .size:           2
        .value_kind:     hidden_remainder_y
      - .offset:         470
        .size:           2
        .value_kind:     hidden_remainder_z
      - .offset:         488
        .size:           8
        .value_kind:     hidden_global_offset_x
      - .offset:         496
        .size:           8
        .value_kind:     hidden_global_offset_y
      - .offset:         504
        .size:           8
        .value_kind:     hidden_global_offset_z
      - .offset:         512
        .size:           2
        .value_kind:     hidden_grid_dims
    .group_segment_fixed_size: 0
    .kernarg_segment_align: 8
    .kernarg_segment_size: 704
    .language:       OpenCL C
    .language_version:
      - 2
      - 0
    .max_flat_workgroup_size: 1024
    .name:           _Z14scatter_kernelIiL13ReductionType4EEvPKT_10TensorInfoIllEPS1_iiii
    .private_segment_fixed_size: 0
    .sgpr_count:     33
    .sgpr_spill_count: 0
    .symbol:         _Z14scatter_kernelIiL13ReductionType4EEvPKT_10TensorInfoIllEPS1_iiii.kd
    .uniform_work_group_size: 1
    .uses_dynamic_stack: false
    .vgpr_count:     21
    .vgpr_spill_count: 0
    .wavefront_size: 64
  - .args:
      - .address_space:  global
        .offset:         0
        .size:           8
        .value_kind:     global_buffer
      - .offset:         8
        .size:           416
        .value_kind:     by_value
      - .address_space:  global
        .offset:         424
        .size:           8
        .value_kind:     global_buffer
      - .offset:         432
        .size:           4
        .value_kind:     by_value
      - .offset:         436
        .size:           4
        .value_kind:     by_value
      - .offset:         440
        .size:           4
        .value_kind:     by_value
      - .offset:         444
        .size:           4
        .value_kind:     by_value
      - .offset:         448
        .size:           4
        .value_kind:     hidden_block_count_x
      - .offset:         452
        .size:           4
        .value_kind:     hidden_block_count_y
      - .offset:         456
        .size:           4
        .value_kind:     hidden_block_count_z
      - .offset:         460
        .size:           2
        .value_kind:     hidden_group_size_x
      - .offset:         462
        .size:           2
        .value_kind:     hidden_group_size_y
      - .offset:         464
        .size:           2
        .value_kind:     hidden_group_size_z
      - .offset:         466
        .size:           2
        .value_kind:     hidden_remainder_x
      - .offset:         468
        .size:           2
        .value_kind:     hidden_remainder_y
      - .offset:         470
        .size:           2
        .value_kind:     hidden_remainder_z
      - .offset:         488
        .size:           8
        .value_kind:     hidden_global_offset_x
      - .offset:         496
        .size:           8
        .value_kind:     hidden_global_offset_y
      - .offset:         504
        .size:           8
        .value_kind:     hidden_global_offset_z
      - .offset:         512
        .size:           2
        .value_kind:     hidden_grid_dims
    .group_segment_fixed_size: 0
    .kernarg_segment_align: 8
    .kernarg_segment_size: 704
    .language:       OpenCL C
    .language_version:
      - 2
      - 0
    .max_flat_workgroup_size: 1024
    .name:           _Z14scatter_kernelIlL13ReductionType1EEvPKT_10TensorInfoIllEPS1_iiii
    .private_segment_fixed_size: 0
    .sgpr_count:     33
    .sgpr_spill_count: 0
    .symbol:         _Z14scatter_kernelIlL13ReductionType1EEvPKT_10TensorInfoIllEPS1_iiii.kd
    .uniform_work_group_size: 1
    .uses_dynamic_stack: false
    .vgpr_count:     21
    .vgpr_spill_count: 0
    .wavefront_size: 64
  - .args:
      - .address_space:  global
        .offset:         0
        .size:           8
        .value_kind:     global_buffer
      - .offset:         8
        .size:           416
        .value_kind:     by_value
      - .address_space:  global
        .offset:         424
        .size:           8
        .value_kind:     global_buffer
      - .offset:         432
        .size:           4
        .value_kind:     by_value
      - .offset:         436
        .size:           4
        .value_kind:     by_value
      - .offset:         440
        .size:           4
        .value_kind:     by_value
      - .offset:         444
        .size:           4
        .value_kind:     by_value
      - .offset:         448
        .size:           4
        .value_kind:     hidden_block_count_x
      - .offset:         452
        .size:           4
        .value_kind:     hidden_block_count_y
      - .offset:         456
        .size:           4
        .value_kind:     hidden_block_count_z
      - .offset:         460
        .size:           2
        .value_kind:     hidden_group_size_x
      - .offset:         462
        .size:           2
        .value_kind:     hidden_group_size_y
      - .offset:         464
        .size:           2
        .value_kind:     hidden_group_size_z
      - .offset:         466
        .size:           2
        .value_kind:     hidden_remainder_x
      - .offset:         468
        .size:           2
        .value_kind:     hidden_remainder_y
      - .offset:         470
        .size:           2
        .value_kind:     hidden_remainder_z
      - .offset:         488
        .size:           8
        .value_kind:     hidden_global_offset_x
      - .offset:         496
        .size:           8
        .value_kind:     hidden_global_offset_y
      - .offset:         504
        .size:           8
        .value_kind:     hidden_global_offset_z
      - .offset:         512
        .size:           2
        .value_kind:     hidden_grid_dims
    .group_segment_fixed_size: 0
    .kernarg_segment_align: 8
    .kernarg_segment_size: 704
    .language:       OpenCL C
    .language_version:
      - 2
      - 0
    .max_flat_workgroup_size: 1024
    .name:           _Z14scatter_kernelIlL13ReductionType2EEvPKT_10TensorInfoIllEPS1_iiii
    .private_segment_fixed_size: 0
    .sgpr_count:     33
    .sgpr_spill_count: 0
    .symbol:         _Z14scatter_kernelIlL13ReductionType2EEvPKT_10TensorInfoIllEPS1_iiii.kd
    .uniform_work_group_size: 1
    .uses_dynamic_stack: false
    .vgpr_count:     21
    .vgpr_spill_count: 0
    .wavefront_size: 64
  - .args:
      - .address_space:  global
        .offset:         0
        .size:           8
        .value_kind:     global_buffer
      - .offset:         8
        .size:           416
        .value_kind:     by_value
      - .address_space:  global
        .offset:         424
        .size:           8
        .value_kind:     global_buffer
      - .offset:         432
        .size:           4
        .value_kind:     by_value
      - .offset:         436
        .size:           4
        .value_kind:     by_value
      - .offset:         440
        .size:           4
        .value_kind:     by_value
      - .offset:         444
        .size:           4
        .value_kind:     by_value
      - .offset:         448
        .size:           4
        .value_kind:     hidden_block_count_x
      - .offset:         452
        .size:           4
        .value_kind:     hidden_block_count_y
      - .offset:         456
        .size:           4
        .value_kind:     hidden_block_count_z
      - .offset:         460
        .size:           2
        .value_kind:     hidden_group_size_x
      - .offset:         462
        .size:           2
        .value_kind:     hidden_group_size_y
      - .offset:         464
        .size:           2
        .value_kind:     hidden_group_size_z
      - .offset:         466
        .size:           2
        .value_kind:     hidden_remainder_x
      - .offset:         468
        .size:           2
        .value_kind:     hidden_remainder_y
      - .offset:         470
        .size:           2
        .value_kind:     hidden_remainder_z
      - .offset:         488
        .size:           8
        .value_kind:     hidden_global_offset_x
      - .offset:         496
        .size:           8
        .value_kind:     hidden_global_offset_y
      - .offset:         504
        .size:           8
        .value_kind:     hidden_global_offset_z
      - .offset:         512
        .size:           2
        .value_kind:     hidden_grid_dims
    .group_segment_fixed_size: 0
    .kernarg_segment_align: 8
    .kernarg_segment_size: 704
    .language:       OpenCL C
    .language_version:
      - 2
      - 0
    .max_flat_workgroup_size: 1024
    .name:           _Z14scatter_kernelIlL13ReductionType0EEvPKT_10TensorInfoIllEPS1_iiii
    .private_segment_fixed_size: 0
    .sgpr_count:     33
    .sgpr_spill_count: 0
    .symbol:         _Z14scatter_kernelIlL13ReductionType0EEvPKT_10TensorInfoIllEPS1_iiii.kd
    .uniform_work_group_size: 1
    .uses_dynamic_stack: false
    .vgpr_count:     21
    .vgpr_spill_count: 0
    .wavefront_size: 64
  - .args:
      - .address_space:  global
        .offset:         0
        .size:           8
        .value_kind:     global_buffer
      - .offset:         8
        .size:           416
        .value_kind:     by_value
      - .address_space:  global
        .offset:         424
        .size:           8
        .value_kind:     global_buffer
      - .offset:         432
        .size:           4
        .value_kind:     by_value
      - .offset:         436
        .size:           4
        .value_kind:     by_value
      - .offset:         440
        .size:           4
        .value_kind:     by_value
      - .offset:         444
        .size:           4
        .value_kind:     by_value
      - .offset:         448
        .size:           4
        .value_kind:     hidden_block_count_x
      - .offset:         452
        .size:           4
        .value_kind:     hidden_block_count_y
      - .offset:         456
        .size:           4
        .value_kind:     hidden_block_count_z
      - .offset:         460
        .size:           2
        .value_kind:     hidden_group_size_x
      - .offset:         462
        .size:           2
        .value_kind:     hidden_group_size_y
      - .offset:         464
        .size:           2
        .value_kind:     hidden_group_size_z
      - .offset:         466
        .size:           2
        .value_kind:     hidden_remainder_x
      - .offset:         468
        .size:           2
        .value_kind:     hidden_remainder_y
      - .offset:         470
        .size:           2
        .value_kind:     hidden_remainder_z
      - .offset:         488
        .size:           8
        .value_kind:     hidden_global_offset_x
      - .offset:         496
        .size:           8
        .value_kind:     hidden_global_offset_y
      - .offset:         504
        .size:           8
        .value_kind:     hidden_global_offset_z
      - .offset:         512
        .size:           2
        .value_kind:     hidden_grid_dims
    .group_segment_fixed_size: 0
    .kernarg_segment_align: 8
    .kernarg_segment_size: 704
    .language:       OpenCL C
    .language_version:
      - 2
      - 0
    .max_flat_workgroup_size: 1024
    .name:           _Z14scatter_kernelIlL13ReductionType3EEvPKT_10TensorInfoIllEPS1_iiii
    .private_segment_fixed_size: 0
    .sgpr_count:     33
    .sgpr_spill_count: 0
    .symbol:         _Z14scatter_kernelIlL13ReductionType3EEvPKT_10TensorInfoIllEPS1_iiii.kd
    .uniform_work_group_size: 1
    .uses_dynamic_stack: false
    .vgpr_count:     21
    .vgpr_spill_count: 0
    .wavefront_size: 64
  - .args:
      - .address_space:  global
        .offset:         0
        .size:           8
        .value_kind:     global_buffer
      - .offset:         8
        .size:           416
        .value_kind:     by_value
      - .address_space:  global
        .offset:         424
        .size:           8
        .value_kind:     global_buffer
      - .offset:         432
        .size:           4
        .value_kind:     by_value
      - .offset:         436
        .size:           4
        .value_kind:     by_value
      - .offset:         440
        .size:           4
        .value_kind:     by_value
      - .offset:         444
        .size:           4
        .value_kind:     by_value
      - .offset:         448
        .size:           4
        .value_kind:     hidden_block_count_x
      - .offset:         452
        .size:           4
        .value_kind:     hidden_block_count_y
      - .offset:         456
        .size:           4
        .value_kind:     hidden_block_count_z
      - .offset:         460
        .size:           2
        .value_kind:     hidden_group_size_x
      - .offset:         462
        .size:           2
        .value_kind:     hidden_group_size_y
      - .offset:         464
        .size:           2
        .value_kind:     hidden_group_size_z
      - .offset:         466
        .size:           2
        .value_kind:     hidden_remainder_x
      - .offset:         468
        .size:           2
        .value_kind:     hidden_remainder_y
      - .offset:         470
        .size:           2
        .value_kind:     hidden_remainder_z
      - .offset:         488
        .size:           8
        .value_kind:     hidden_global_offset_x
      - .offset:         496
        .size:           8
        .value_kind:     hidden_global_offset_y
      - .offset:         504
        .size:           8
        .value_kind:     hidden_global_offset_z
      - .offset:         512
        .size:           2
        .value_kind:     hidden_grid_dims
    .group_segment_fixed_size: 0
    .kernarg_segment_align: 8
    .kernarg_segment_size: 704
    .language:       OpenCL C
    .language_version:
      - 2
      - 0
    .max_flat_workgroup_size: 1024
    .name:           _Z14scatter_kernelIlL13ReductionType4EEvPKT_10TensorInfoIllEPS1_iiii
    .private_segment_fixed_size: 0
    .sgpr_count:     33
    .sgpr_spill_count: 0
    .symbol:         _Z14scatter_kernelIlL13ReductionType4EEvPKT_10TensorInfoIllEPS1_iiii.kd
    .uniform_work_group_size: 1
    .uses_dynamic_stack: false
    .vgpr_count:     21
    .vgpr_spill_count: 0
    .wavefront_size: 64
  - .args:
      - .address_space:  global
        .offset:         0
        .size:           8
        .value_kind:     global_buffer
      - .offset:         8
        .size:           416
        .value_kind:     by_value
      - .address_space:  global
        .offset:         424
        .size:           8
        .value_kind:     global_buffer
      - .offset:         432
        .size:           4
        .value_kind:     by_value
      - .offset:         436
        .size:           4
        .value_kind:     by_value
      - .offset:         440
        .size:           4
        .value_kind:     by_value
      - .offset:         444
        .size:           4
        .value_kind:     by_value
      - .offset:         448
        .size:           4
        .value_kind:     hidden_block_count_x
      - .offset:         452
        .size:           4
        .value_kind:     hidden_block_count_y
      - .offset:         456
        .size:           4
        .value_kind:     hidden_block_count_z
      - .offset:         460
        .size:           2
        .value_kind:     hidden_group_size_x
      - .offset:         462
        .size:           2
        .value_kind:     hidden_group_size_y
      - .offset:         464
        .size:           2
        .value_kind:     hidden_group_size_z
      - .offset:         466
        .size:           2
        .value_kind:     hidden_remainder_x
      - .offset:         468
        .size:           2
        .value_kind:     hidden_remainder_y
      - .offset:         470
        .size:           2
        .value_kind:     hidden_remainder_z
      - .offset:         488
        .size:           8
        .value_kind:     hidden_global_offset_x
      - .offset:         496
        .size:           8
        .value_kind:     hidden_global_offset_y
      - .offset:         504
        .size:           8
        .value_kind:     hidden_global_offset_z
      - .offset:         512
        .size:           2
        .value_kind:     hidden_grid_dims
    .group_segment_fixed_size: 0
    .kernarg_segment_align: 8
    .kernarg_segment_size: 704
    .language:       OpenCL C
    .language_version:
      - 2
      - 0
    .max_flat_workgroup_size: 1024
    .name:           _Z14scatter_kernelIfL13ReductionType1EEvPKT_10TensorInfoIllEPS1_iiii
    .private_segment_fixed_size: 0
    .sgpr_count:     33
    .sgpr_spill_count: 0
    .symbol:         _Z14scatter_kernelIfL13ReductionType1EEvPKT_10TensorInfoIllEPS1_iiii.kd
    .uniform_work_group_size: 1
    .uses_dynamic_stack: false
    .vgpr_count:     21
    .vgpr_spill_count: 0
    .wavefront_size: 64
  - .args:
      - .address_space:  global
        .offset:         0
        .size:           8
        .value_kind:     global_buffer
      - .offset:         8
        .size:           416
        .value_kind:     by_value
      - .address_space:  global
        .offset:         424
        .size:           8
        .value_kind:     global_buffer
      - .offset:         432
        .size:           4
        .value_kind:     by_value
      - .offset:         436
        .size:           4
        .value_kind:     by_value
      - .offset:         440
        .size:           4
        .value_kind:     by_value
      - .offset:         444
        .size:           4
        .value_kind:     by_value
      - .offset:         448
        .size:           4
        .value_kind:     hidden_block_count_x
      - .offset:         452
        .size:           4
        .value_kind:     hidden_block_count_y
      - .offset:         456
        .size:           4
        .value_kind:     hidden_block_count_z
      - .offset:         460
        .size:           2
        .value_kind:     hidden_group_size_x
      - .offset:         462
        .size:           2
        .value_kind:     hidden_group_size_y
      - .offset:         464
        .size:           2
        .value_kind:     hidden_group_size_z
      - .offset:         466
        .size:           2
        .value_kind:     hidden_remainder_x
      - .offset:         468
        .size:           2
        .value_kind:     hidden_remainder_y
      - .offset:         470
        .size:           2
        .value_kind:     hidden_remainder_z
      - .offset:         488
        .size:           8
        .value_kind:     hidden_global_offset_x
      - .offset:         496
        .size:           8
        .value_kind:     hidden_global_offset_y
      - .offset:         504
        .size:           8
        .value_kind:     hidden_global_offset_z
      - .offset:         512
        .size:           2
        .value_kind:     hidden_grid_dims
    .group_segment_fixed_size: 0
    .kernarg_segment_align: 8
    .kernarg_segment_size: 704
    .language:       OpenCL C
    .language_version:
      - 2
      - 0
    .max_flat_workgroup_size: 1024
    .name:           _Z14scatter_kernelIfL13ReductionType2EEvPKT_10TensorInfoIllEPS1_iiii
    .private_segment_fixed_size: 0
    .sgpr_count:     33
    .sgpr_spill_count: 0
    .symbol:         _Z14scatter_kernelIfL13ReductionType2EEvPKT_10TensorInfoIllEPS1_iiii.kd
    .uniform_work_group_size: 1
    .uses_dynamic_stack: false
    .vgpr_count:     21
    .vgpr_spill_count: 0
    .wavefront_size: 64
  - .args:
      - .address_space:  global
        .offset:         0
        .size:           8
        .value_kind:     global_buffer
      - .offset:         8
        .size:           416
        .value_kind:     by_value
      - .address_space:  global
        .offset:         424
        .size:           8
        .value_kind:     global_buffer
      - .offset:         432
        .size:           4
        .value_kind:     by_value
      - .offset:         436
        .size:           4
        .value_kind:     by_value
      - .offset:         440
        .size:           4
        .value_kind:     by_value
      - .offset:         444
        .size:           4
        .value_kind:     by_value
      - .offset:         448
        .size:           4
        .value_kind:     hidden_block_count_x
      - .offset:         452
        .size:           4
        .value_kind:     hidden_block_count_y
      - .offset:         456
        .size:           4
        .value_kind:     hidden_block_count_z
      - .offset:         460
        .size:           2
        .value_kind:     hidden_group_size_x
      - .offset:         462
        .size:           2
        .value_kind:     hidden_group_size_y
      - .offset:         464
        .size:           2
        .value_kind:     hidden_group_size_z
      - .offset:         466
        .size:           2
        .value_kind:     hidden_remainder_x
      - .offset:         468
        .size:           2
        .value_kind:     hidden_remainder_y
      - .offset:         470
        .size:           2
        .value_kind:     hidden_remainder_z
      - .offset:         488
        .size:           8
        .value_kind:     hidden_global_offset_x
      - .offset:         496
        .size:           8
        .value_kind:     hidden_global_offset_y
      - .offset:         504
        .size:           8
        .value_kind:     hidden_global_offset_z
      - .offset:         512
        .size:           2
        .value_kind:     hidden_grid_dims
    .group_segment_fixed_size: 0
    .kernarg_segment_align: 8
    .kernarg_segment_size: 704
    .language:       OpenCL C
    .language_version:
      - 2
      - 0
    .max_flat_workgroup_size: 1024
    .name:           _Z14scatter_kernelIfL13ReductionType0EEvPKT_10TensorInfoIllEPS1_iiii
    .private_segment_fixed_size: 0
    .sgpr_count:     33
    .sgpr_spill_count: 0
    .symbol:         _Z14scatter_kernelIfL13ReductionType0EEvPKT_10TensorInfoIllEPS1_iiii.kd
    .uniform_work_group_size: 1
    .uses_dynamic_stack: false
    .vgpr_count:     21
    .vgpr_spill_count: 0
    .wavefront_size: 64
  - .args:
      - .address_space:  global
        .offset:         0
        .size:           8
        .value_kind:     global_buffer
      - .offset:         8
        .size:           416
        .value_kind:     by_value
      - .address_space:  global
        .offset:         424
        .size:           8
        .value_kind:     global_buffer
      - .offset:         432
        .size:           4
        .value_kind:     by_value
      - .offset:         436
        .size:           4
        .value_kind:     by_value
      - .offset:         440
        .size:           4
        .value_kind:     by_value
      - .offset:         444
        .size:           4
        .value_kind:     by_value
      - .offset:         448
        .size:           4
        .value_kind:     hidden_block_count_x
      - .offset:         452
        .size:           4
        .value_kind:     hidden_block_count_y
      - .offset:         456
        .size:           4
        .value_kind:     hidden_block_count_z
      - .offset:         460
        .size:           2
        .value_kind:     hidden_group_size_x
      - .offset:         462
        .size:           2
        .value_kind:     hidden_group_size_y
      - .offset:         464
        .size:           2
        .value_kind:     hidden_group_size_z
      - .offset:         466
        .size:           2
        .value_kind:     hidden_remainder_x
      - .offset:         468
        .size:           2
        .value_kind:     hidden_remainder_y
      - .offset:         470
        .size:           2
        .value_kind:     hidden_remainder_z
      - .offset:         488
        .size:           8
        .value_kind:     hidden_global_offset_x
      - .offset:         496
        .size:           8
        .value_kind:     hidden_global_offset_y
      - .offset:         504
        .size:           8
        .value_kind:     hidden_global_offset_z
      - .offset:         512
        .size:           2
        .value_kind:     hidden_grid_dims
    .group_segment_fixed_size: 0
    .kernarg_segment_align: 8
    .kernarg_segment_size: 704
    .language:       OpenCL C
    .language_version:
      - 2
      - 0
    .max_flat_workgroup_size: 1024
    .name:           _Z14scatter_kernelIfL13ReductionType3EEvPKT_10TensorInfoIllEPS1_iiii
    .private_segment_fixed_size: 0
    .sgpr_count:     33
    .sgpr_spill_count: 0
    .symbol:         _Z14scatter_kernelIfL13ReductionType3EEvPKT_10TensorInfoIllEPS1_iiii.kd
    .uniform_work_group_size: 1
    .uses_dynamic_stack: false
    .vgpr_count:     21
    .vgpr_spill_count: 0
    .wavefront_size: 64
  - .args:
      - .address_space:  global
        .offset:         0
        .size:           8
        .value_kind:     global_buffer
      - .offset:         8
        .size:           416
        .value_kind:     by_value
      - .address_space:  global
        .offset:         424
        .size:           8
        .value_kind:     global_buffer
      - .offset:         432
        .size:           4
        .value_kind:     by_value
      - .offset:         436
        .size:           4
        .value_kind:     by_value
      - .offset:         440
        .size:           4
        .value_kind:     by_value
      - .offset:         444
        .size:           4
        .value_kind:     by_value
      - .offset:         448
        .size:           4
        .value_kind:     hidden_block_count_x
      - .offset:         452
        .size:           4
        .value_kind:     hidden_block_count_y
      - .offset:         456
        .size:           4
        .value_kind:     hidden_block_count_z
      - .offset:         460
        .size:           2
        .value_kind:     hidden_group_size_x
      - .offset:         462
        .size:           2
        .value_kind:     hidden_group_size_y
      - .offset:         464
        .size:           2
        .value_kind:     hidden_group_size_z
      - .offset:         466
        .size:           2
        .value_kind:     hidden_remainder_x
      - .offset:         468
        .size:           2
        .value_kind:     hidden_remainder_y
      - .offset:         470
        .size:           2
        .value_kind:     hidden_remainder_z
      - .offset:         488
        .size:           8
        .value_kind:     hidden_global_offset_x
      - .offset:         496
        .size:           8
        .value_kind:     hidden_global_offset_y
      - .offset:         504
        .size:           8
        .value_kind:     hidden_global_offset_z
      - .offset:         512
        .size:           2
        .value_kind:     hidden_grid_dims
    .group_segment_fixed_size: 0
    .kernarg_segment_align: 8
    .kernarg_segment_size: 704
    .language:       OpenCL C
    .language_version:
      - 2
      - 0
    .max_flat_workgroup_size: 1024
    .name:           _Z14scatter_kernelIfL13ReductionType4EEvPKT_10TensorInfoIllEPS1_iiii
    .private_segment_fixed_size: 0
    .sgpr_count:     33
    .sgpr_spill_count: 0
    .symbol:         _Z14scatter_kernelIfL13ReductionType4EEvPKT_10TensorInfoIllEPS1_iiii.kd
    .uniform_work_group_size: 1
    .uses_dynamic_stack: false
    .vgpr_count:     21
    .vgpr_spill_count: 0
    .wavefront_size: 64
  - .args:
      - .address_space:  global
        .offset:         0
        .size:           8
        .value_kind:     global_buffer
      - .offset:         8
        .size:           416
        .value_kind:     by_value
      - .address_space:  global
        .offset:         424
        .size:           8
        .value_kind:     global_buffer
      - .offset:         432
        .size:           4
        .value_kind:     by_value
      - .offset:         436
        .size:           4
        .value_kind:     by_value
      - .offset:         440
        .size:           4
        .value_kind:     by_value
      - .offset:         444
        .size:           4
        .value_kind:     by_value
      - .offset:         448
        .size:           4
        .value_kind:     hidden_block_count_x
      - .offset:         452
        .size:           4
        .value_kind:     hidden_block_count_y
      - .offset:         456
        .size:           4
        .value_kind:     hidden_block_count_z
      - .offset:         460
        .size:           2
        .value_kind:     hidden_group_size_x
      - .offset:         462
        .size:           2
        .value_kind:     hidden_group_size_y
      - .offset:         464
        .size:           2
        .value_kind:     hidden_group_size_z
      - .offset:         466
        .size:           2
        .value_kind:     hidden_remainder_x
      - .offset:         468
        .size:           2
        .value_kind:     hidden_remainder_y
      - .offset:         470
        .size:           2
        .value_kind:     hidden_remainder_z
      - .offset:         488
        .size:           8
        .value_kind:     hidden_global_offset_x
      - .offset:         496
        .size:           8
        .value_kind:     hidden_global_offset_y
      - .offset:         504
        .size:           8
        .value_kind:     hidden_global_offset_z
      - .offset:         512
        .size:           2
        .value_kind:     hidden_grid_dims
    .group_segment_fixed_size: 0
    .kernarg_segment_align: 8
    .kernarg_segment_size: 704
    .language:       OpenCL C
    .language_version:
      - 2
      - 0
    .max_flat_workgroup_size: 1024
    .name:           _Z14scatter_kernelIdL13ReductionType1EEvPKT_10TensorInfoIllEPS1_iiii
    .private_segment_fixed_size: 0
    .sgpr_count:     33
    .sgpr_spill_count: 0
    .symbol:         _Z14scatter_kernelIdL13ReductionType1EEvPKT_10TensorInfoIllEPS1_iiii.kd
    .uniform_work_group_size: 1
    .uses_dynamic_stack: false
    .vgpr_count:     21
    .vgpr_spill_count: 0
    .wavefront_size: 64
  - .args:
      - .address_space:  global
        .offset:         0
        .size:           8
        .value_kind:     global_buffer
      - .offset:         8
        .size:           416
        .value_kind:     by_value
      - .address_space:  global
        .offset:         424
        .size:           8
        .value_kind:     global_buffer
      - .offset:         432
        .size:           4
        .value_kind:     by_value
      - .offset:         436
        .size:           4
        .value_kind:     by_value
      - .offset:         440
        .size:           4
        .value_kind:     by_value
      - .offset:         444
        .size:           4
        .value_kind:     by_value
      - .offset:         448
        .size:           4
        .value_kind:     hidden_block_count_x
      - .offset:         452
        .size:           4
        .value_kind:     hidden_block_count_y
      - .offset:         456
        .size:           4
        .value_kind:     hidden_block_count_z
      - .offset:         460
        .size:           2
        .value_kind:     hidden_group_size_x
      - .offset:         462
        .size:           2
        .value_kind:     hidden_group_size_y
      - .offset:         464
        .size:           2
        .value_kind:     hidden_group_size_z
      - .offset:         466
        .size:           2
        .value_kind:     hidden_remainder_x
      - .offset:         468
        .size:           2
        .value_kind:     hidden_remainder_y
      - .offset:         470
        .size:           2
        .value_kind:     hidden_remainder_z
      - .offset:         488
        .size:           8
        .value_kind:     hidden_global_offset_x
      - .offset:         496
        .size:           8
        .value_kind:     hidden_global_offset_y
      - .offset:         504
        .size:           8
        .value_kind:     hidden_global_offset_z
      - .offset:         512
        .size:           2
        .value_kind:     hidden_grid_dims
    .group_segment_fixed_size: 0
    .kernarg_segment_align: 8
    .kernarg_segment_size: 704
    .language:       OpenCL C
    .language_version:
      - 2
      - 0
    .max_flat_workgroup_size: 1024
    .name:           _Z14scatter_kernelIdL13ReductionType2EEvPKT_10TensorInfoIllEPS1_iiii
    .private_segment_fixed_size: 0
    .sgpr_count:     33
    .sgpr_spill_count: 0
    .symbol:         _Z14scatter_kernelIdL13ReductionType2EEvPKT_10TensorInfoIllEPS1_iiii.kd
    .uniform_work_group_size: 1
    .uses_dynamic_stack: false
    .vgpr_count:     21
    .vgpr_spill_count: 0
    .wavefront_size: 64
  - .args:
      - .address_space:  global
        .offset:         0
        .size:           8
        .value_kind:     global_buffer
      - .offset:         8
        .size:           416
        .value_kind:     by_value
      - .address_space:  global
        .offset:         424
        .size:           8
        .value_kind:     global_buffer
      - .offset:         432
        .size:           4
        .value_kind:     by_value
      - .offset:         436
        .size:           4
        .value_kind:     by_value
      - .offset:         440
        .size:           4
        .value_kind:     by_value
      - .offset:         444
        .size:           4
        .value_kind:     by_value
      - .offset:         448
        .size:           4
        .value_kind:     hidden_block_count_x
      - .offset:         452
        .size:           4
        .value_kind:     hidden_block_count_y
      - .offset:         456
        .size:           4
        .value_kind:     hidden_block_count_z
      - .offset:         460
        .size:           2
        .value_kind:     hidden_group_size_x
      - .offset:         462
        .size:           2
        .value_kind:     hidden_group_size_y
      - .offset:         464
        .size:           2
        .value_kind:     hidden_group_size_z
      - .offset:         466
        .size:           2
        .value_kind:     hidden_remainder_x
      - .offset:         468
        .size:           2
        .value_kind:     hidden_remainder_y
      - .offset:         470
        .size:           2
        .value_kind:     hidden_remainder_z
      - .offset:         488
        .size:           8
        .value_kind:     hidden_global_offset_x
      - .offset:         496
        .size:           8
        .value_kind:     hidden_global_offset_y
      - .offset:         504
        .size:           8
        .value_kind:     hidden_global_offset_z
      - .offset:         512
        .size:           2
        .value_kind:     hidden_grid_dims
    .group_segment_fixed_size: 0
    .kernarg_segment_align: 8
    .kernarg_segment_size: 704
    .language:       OpenCL C
    .language_version:
      - 2
      - 0
    .max_flat_workgroup_size: 1024
    .name:           _Z14scatter_kernelIdL13ReductionType0EEvPKT_10TensorInfoIllEPS1_iiii
    .private_segment_fixed_size: 0
    .sgpr_count:     33
    .sgpr_spill_count: 0
    .symbol:         _Z14scatter_kernelIdL13ReductionType0EEvPKT_10TensorInfoIllEPS1_iiii.kd
    .uniform_work_group_size: 1
    .uses_dynamic_stack: false
    .vgpr_count:     21
    .vgpr_spill_count: 0
    .wavefront_size: 64
  - .args:
      - .address_space:  global
        .offset:         0
        .size:           8
        .value_kind:     global_buffer
      - .offset:         8
        .size:           416
        .value_kind:     by_value
      - .address_space:  global
        .offset:         424
        .size:           8
        .value_kind:     global_buffer
      - .offset:         432
        .size:           4
        .value_kind:     by_value
      - .offset:         436
        .size:           4
        .value_kind:     by_value
      - .offset:         440
        .size:           4
        .value_kind:     by_value
      - .offset:         444
        .size:           4
        .value_kind:     by_value
      - .offset:         448
        .size:           4
        .value_kind:     hidden_block_count_x
      - .offset:         452
        .size:           4
        .value_kind:     hidden_block_count_y
      - .offset:         456
        .size:           4
        .value_kind:     hidden_block_count_z
      - .offset:         460
        .size:           2
        .value_kind:     hidden_group_size_x
      - .offset:         462
        .size:           2
        .value_kind:     hidden_group_size_y
      - .offset:         464
        .size:           2
        .value_kind:     hidden_group_size_z
      - .offset:         466
        .size:           2
        .value_kind:     hidden_remainder_x
      - .offset:         468
        .size:           2
        .value_kind:     hidden_remainder_y
      - .offset:         470
        .size:           2
        .value_kind:     hidden_remainder_z
      - .offset:         488
        .size:           8
        .value_kind:     hidden_global_offset_x
      - .offset:         496
        .size:           8
        .value_kind:     hidden_global_offset_y
      - .offset:         504
        .size:           8
        .value_kind:     hidden_global_offset_z
      - .offset:         512
        .size:           2
        .value_kind:     hidden_grid_dims
    .group_segment_fixed_size: 0
    .kernarg_segment_align: 8
    .kernarg_segment_size: 704
    .language:       OpenCL C
    .language_version:
      - 2
      - 0
    .max_flat_workgroup_size: 1024
    .name:           _Z14scatter_kernelIdL13ReductionType3EEvPKT_10TensorInfoIllEPS1_iiii
    .private_segment_fixed_size: 0
    .sgpr_count:     33
    .sgpr_spill_count: 0
    .symbol:         _Z14scatter_kernelIdL13ReductionType3EEvPKT_10TensorInfoIllEPS1_iiii.kd
    .uniform_work_group_size: 1
    .uses_dynamic_stack: false
    .vgpr_count:     21
    .vgpr_spill_count: 0
    .wavefront_size: 64
  - .args:
      - .address_space:  global
        .offset:         0
        .size:           8
        .value_kind:     global_buffer
      - .offset:         8
        .size:           416
        .value_kind:     by_value
      - .address_space:  global
        .offset:         424
        .size:           8
        .value_kind:     global_buffer
      - .offset:         432
        .size:           4
        .value_kind:     by_value
      - .offset:         436
        .size:           4
        .value_kind:     by_value
      - .offset:         440
        .size:           4
        .value_kind:     by_value
      - .offset:         444
        .size:           4
        .value_kind:     by_value
      - .offset:         448
        .size:           4
        .value_kind:     hidden_block_count_x
      - .offset:         452
        .size:           4
        .value_kind:     hidden_block_count_y
      - .offset:         456
        .size:           4
        .value_kind:     hidden_block_count_z
      - .offset:         460
        .size:           2
        .value_kind:     hidden_group_size_x
      - .offset:         462
        .size:           2
        .value_kind:     hidden_group_size_y
      - .offset:         464
        .size:           2
        .value_kind:     hidden_group_size_z
      - .offset:         466
        .size:           2
        .value_kind:     hidden_remainder_x
      - .offset:         468
        .size:           2
        .value_kind:     hidden_remainder_y
      - .offset:         470
        .size:           2
        .value_kind:     hidden_remainder_z
      - .offset:         488
        .size:           8
        .value_kind:     hidden_global_offset_x
      - .offset:         496
        .size:           8
        .value_kind:     hidden_global_offset_y
      - .offset:         504
        .size:           8
        .value_kind:     hidden_global_offset_z
      - .offset:         512
        .size:           2
        .value_kind:     hidden_grid_dims
    .group_segment_fixed_size: 0
    .kernarg_segment_align: 8
    .kernarg_segment_size: 704
    .language:       OpenCL C
    .language_version:
      - 2
      - 0
    .max_flat_workgroup_size: 1024
    .name:           _Z14scatter_kernelIdL13ReductionType4EEvPKT_10TensorInfoIllEPS1_iiii
    .private_segment_fixed_size: 0
    .sgpr_count:     33
    .sgpr_spill_count: 0
    .symbol:         _Z14scatter_kernelIdL13ReductionType4EEvPKT_10TensorInfoIllEPS1_iiii.kd
    .uniform_work_group_size: 1
    .uses_dynamic_stack: false
    .vgpr_count:     21
    .vgpr_spill_count: 0
    .wavefront_size: 64
amdhsa.target:   amdgcn-amd-amdhsa--gfx906
amdhsa.version:
  - 1
  - 2
...

	.end_amdgpu_metadata
